;; amdgpu-corpus repo=ROCm/rocFFT kind=compiled arch=gfx1030 opt=O3
	.text
	.amdgcn_target "amdgcn-amd-amdhsa--gfx1030"
	.amdhsa_code_object_version 6
	.protected	fft_rtc_back_len169_factors_13_13_wgs_156_tpt_13_dp_ip_CI_sbcc_twdbase6_3step_dirReg_intrinsicReadWrite ; -- Begin function fft_rtc_back_len169_factors_13_13_wgs_156_tpt_13_dp_ip_CI_sbcc_twdbase6_3step_dirReg_intrinsicReadWrite
	.globl	fft_rtc_back_len169_factors_13_13_wgs_156_tpt_13_dp_ip_CI_sbcc_twdbase6_3step_dirReg_intrinsicReadWrite
	.p2align	8
	.type	fft_rtc_back_len169_factors_13_13_wgs_156_tpt_13_dp_ip_CI_sbcc_twdbase6_3step_dirReg_intrinsicReadWrite,@function
fft_rtc_back_len169_factors_13_13_wgs_156_tpt_13_dp_ip_CI_sbcc_twdbase6_3step_dirReg_intrinsicReadWrite: ; @fft_rtc_back_len169_factors_13_13_wgs_156_tpt_13_dp_ip_CI_sbcc_twdbase6_3step_dirReg_intrinsicReadWrite
; %bb.0:
	s_clause 0x2
	s_load_dwordx2 s[16:17], s[4:5], 0x58
	s_load_dwordx2 s[20:21], s[4:5], 0x0
	s_load_dwordx8 s[8:15], s[4:5], 0x8
	s_mov_b32 s1, exec_lo
	v_cmpx_gt_u32_e32 0xc0, v0
	s_cbranch_execz .LBB0_3
; %bb.1:
	v_lshlrev_b32_e32 v5, 4, v0
	v_add_co_u32 v1, s0, 0xffffff64, v0
	v_add_co_ci_u32_e64 v2, null, 0, -1, s0
	s_waitcnt lgkmcnt(0)
	v_add_co_u32 v3, s0, s8, v5
	v_add_co_ci_u32_e64 v4, null, s9, 0, s0
	v_add3_u32 v5, v5, 0, 0x7ec0
	s_mov_b32 s2, 0
	.p2align	6
.LBB0_2:                                ; =>This Inner Loop Header: Depth=1
	global_load_dwordx4 v[6:9], v[3:4], off
	v_add_co_u32 v1, vcc_lo, 0x9c, v1
	v_add_co_ci_u32_e32 v2, vcc_lo, 0, v2, vcc_lo
	v_add_co_u32 v3, vcc_lo, 0x9c0, v3
	v_add_co_ci_u32_e32 v4, vcc_lo, 0, v4, vcc_lo
	v_cmp_lt_u64_e64 s0, 35, v[1:2]
	s_or_b32 s2, s0, s2
	s_waitcnt vmcnt(0)
	ds_write2_b64 v5, v[6:7], v[8:9] offset1:1
	v_add_nc_u32_e32 v5, 0x9c0, v5
	s_andn2_b32 exec_lo, exec_lo, s2
	s_cbranch_execnz .LBB0_2
.LBB0_3:
	s_or_b32 exec_lo, exec_lo, s1
	s_waitcnt lgkmcnt(0)
	s_load_dwordx2 s[4:5], s[12:13], 0x8
	s_waitcnt lgkmcnt(0)
	s_add_u32 s0, s4, -1
	s_addc_u32 s1, s5, -1
	s_add_u32 s2, 0, 0x55540000
	s_addc_u32 s3, 0, 0x55
	s_mul_hi_u32 s8, s2, -12
	s_add_i32 s3, s3, 0x15555500
	s_sub_i32 s8, s8, s2
	s_mul_i32 s18, s3, -12
	s_mul_i32 s7, s2, -12
	s_add_i32 s8, s8, s18
	s_mul_hi_u32 s9, s2, s7
	s_mul_i32 s22, s2, s8
	s_mul_hi_u32 s18, s2, s8
	s_mul_hi_u32 s19, s3, s7
	s_mul_i32 s7, s3, s7
	s_add_u32 s9, s9, s22
	s_addc_u32 s18, 0, s18
	s_mul_hi_u32 s23, s3, s8
	s_add_u32 s7, s9, s7
	s_mul_i32 s8, s3, s8
	s_addc_u32 s7, s18, s19
	s_addc_u32 s9, s23, 0
	s_add_u32 s7, s7, s8
	v_add_co_u32 v1, s2, s2, s7
	s_addc_u32 s7, 0, s9
	s_cmp_lg_u32 s2, 0
	s_addc_u32 s2, s3, s7
	v_readfirstlane_b32 s3, v1
	s_mul_i32 s8, s0, s2
	s_mul_hi_u32 s7, s0, s2
	s_mul_hi_u32 s9, s1, s2
	s_mul_i32 s2, s1, s2
	s_mul_hi_u32 s18, s0, s3
	s_mul_hi_u32 s19, s1, s3
	s_mul_i32 s3, s1, s3
	s_add_u32 s8, s18, s8
	s_addc_u32 s7, 0, s7
	s_add_u32 s3, s8, s3
	s_addc_u32 s3, s7, s19
	s_addc_u32 s7, s9, 0
	s_add_u32 s2, s3, s2
	s_addc_u32 s3, 0, s7
	s_mul_i32 s8, s2, 12
	s_add_u32 s7, s2, 1
	v_sub_co_u32 v1, s0, s0, s8
	s_mul_hi_u32 s8, s2, 12
	s_addc_u32 s9, s3, 0
	s_mul_i32 s18, s3, 12
	v_sub_co_u32 v2, s19, v1, 12
	s_add_u32 s22, s2, 2
	s_addc_u32 s23, s3, 0
	s_add_i32 s8, s8, s18
	s_cmp_lg_u32 s0, 0
	v_readfirstlane_b32 s0, v2
	s_subb_u32 s1, s1, s8
	s_cmp_lg_u32 s19, 0
	s_mov_b64 s[18:19], 0
	s_subb_u32 s8, s1, 0
	s_cmp_gt_u32 s0, 11
	s_cselect_b32 s0, -1, 0
	s_cmp_eq_u32 s8, 0
	v_readfirstlane_b32 s8, v1
	s_cselect_b32 s0, s0, -1
	s_cmp_lg_u32 s0, 0
	s_cselect_b32 s0, s22, s7
	s_cselect_b32 s9, s23, s9
	s_cmp_gt_u32 s8, 11
	s_cselect_b32 s7, -1, 0
	s_cmp_eq_u32 s1, 0
	s_cselect_b32 s1, s7, -1
	s_mov_b32 s7, 0
	s_cmp_lg_u32 s1, 0
	s_cselect_b32 s0, s0, s2
	s_cselect_b32 s1, s9, s3
	s_add_u32 s8, s0, 1
	s_addc_u32 s9, s1, 0
	v_cmp_lt_u64_e64 s0, s[6:7], s[8:9]
	s_and_b32 vcc_lo, exec_lo, s0
	s_cbranch_vccnz .LBB0_5
; %bb.4:
	v_cvt_f32_u32_e32 v1, s8
	s_sub_i32 s1, 0, s8
	s_mov_b32 s19, s7
	v_rcp_iflag_f32_e32 v1, v1
	v_mul_f32_e32 v1, 0x4f7ffffe, v1
	v_cvt_u32_f32_e32 v1, v1
	v_readfirstlane_b32 s0, v1
	s_mul_i32 s1, s1, s0
	s_mul_hi_u32 s1, s0, s1
	s_add_i32 s0, s0, s1
	s_mul_hi_u32 s0, s6, s0
	s_mul_i32 s1, s0, s8
	s_add_i32 s2, s0, 1
	s_sub_i32 s1, s6, s1
	s_sub_i32 s3, s1, s8
	s_cmp_ge_u32 s1, s8
	s_cselect_b32 s0, s2, s0
	s_cselect_b32 s1, s3, s1
	s_add_i32 s2, s0, 1
	s_cmp_ge_u32 s1, s8
	s_cselect_b32 s18, s2, s0
.LBB0_5:
	s_load_dwordx4 s[0:3], s[14:15], 0x0
	s_waitcnt lgkmcnt(0)
	s_mul_i32 s1, s18, s9
	s_mul_hi_u32 s22, s18, s8
	s_mul_i32 s23, s18, s8
	s_add_i32 s22, s22, s1
	s_sub_u32 s33, s6, s23
	s_subb_u32 s1, 0, s22
	v_cmp_lt_u64_e64 s24, s[10:11], 3
	s_mul_hi_u32 s22, s33, 12
	s_mul_i32 s1, s1, 12
	s_mul_i32 s33, s33, 12
	s_add_i32 s1, s22, s1
	s_and_b32 vcc_lo, exec_lo, s24
	s_mul_i32 s22, s2, s1
	s_mul_hi_u32 s23, s2, s33
	s_mul_i32 s24, s3, s33
	s_add_i32 s22, s23, s22
	s_mul_i32 s3, s2, s33
	s_add_i32 s34, s22, s24
	s_cbranch_vccnz .LBB0_13
; %bb.6:
	s_add_u32 s22, s14, 16
	s_addc_u32 s23, s15, 0
	s_add_u32 s12, s12, 16
	s_addc_u32 s13, s13, 0
	s_mov_b64 s[24:25], 2
	s_mov_b32 s26, 0
.LBB0_7:                                ; =>This Inner Loop Header: Depth=1
	s_load_dwordx2 s[28:29], s[12:13], 0x0
	s_waitcnt lgkmcnt(0)
	s_or_b64 s[30:31], s[18:19], s[28:29]
	s_mov_b32 s27, s31
                                        ; implicit-def: $sgpr30_sgpr31
	s_cmp_lg_u64 s[26:27], 0
	s_mov_b32 s27, -1
	s_cbranch_scc0 .LBB0_9
; %bb.8:                                ;   in Loop: Header=BB0_7 Depth=1
	v_cvt_f32_u32_e32 v1, s28
	v_cvt_f32_u32_e32 v2, s29
	s_sub_u32 s31, 0, s28
	s_subb_u32 s35, 0, s29
	v_fmac_f32_e32 v1, 0x4f800000, v2
	v_rcp_f32_e32 v1, v1
	v_mul_f32_e32 v1, 0x5f7ffffc, v1
	v_mul_f32_e32 v2, 0x2f800000, v1
	v_trunc_f32_e32 v2, v2
	v_fmac_f32_e32 v1, 0xcf800000, v2
	v_cvt_u32_f32_e32 v2, v2
	v_cvt_u32_f32_e32 v1, v1
	v_readfirstlane_b32 s27, v2
	v_readfirstlane_b32 s30, v1
	s_mul_i32 s36, s31, s27
	s_mul_hi_u32 s38, s31, s30
	s_mul_i32 s37, s35, s30
	s_add_i32 s36, s38, s36
	s_mul_i32 s39, s31, s30
	s_add_i32 s36, s36, s37
	s_mul_hi_u32 s38, s30, s39
	s_mul_hi_u32 s40, s27, s39
	s_mul_i32 s37, s27, s39
	s_mul_hi_u32 s39, s30, s36
	s_mul_i32 s30, s30, s36
	s_mul_hi_u32 s41, s27, s36
	s_add_u32 s30, s38, s30
	s_addc_u32 s38, 0, s39
	s_add_u32 s30, s30, s37
	s_mul_i32 s36, s27, s36
	s_addc_u32 s30, s38, s40
	s_addc_u32 s37, s41, 0
	s_add_u32 s30, s30, s36
	s_addc_u32 s36, 0, s37
	v_add_co_u32 v1, s30, v1, s30
	s_cmp_lg_u32 s30, 0
	s_addc_u32 s27, s27, s36
	v_readfirstlane_b32 s30, v1
	s_mul_i32 s36, s31, s27
	s_mul_hi_u32 s37, s31, s30
	s_mul_i32 s35, s35, s30
	s_add_i32 s36, s37, s36
	s_mul_i32 s31, s31, s30
	s_add_i32 s36, s36, s35
	s_mul_hi_u32 s37, s27, s31
	s_mul_i32 s38, s27, s31
	s_mul_hi_u32 s31, s30, s31
	s_mul_hi_u32 s39, s30, s36
	s_mul_i32 s30, s30, s36
	s_mul_hi_u32 s35, s27, s36
	s_add_u32 s30, s31, s30
	s_addc_u32 s31, 0, s39
	s_add_u32 s30, s30, s38
	s_mul_i32 s36, s27, s36
	s_addc_u32 s30, s31, s37
	s_addc_u32 s31, s35, 0
	s_add_u32 s30, s30, s36
	s_addc_u32 s31, 0, s31
	v_add_co_u32 v1, s30, v1, s30
	s_cmp_lg_u32 s30, 0
	s_addc_u32 s27, s27, s31
	v_readfirstlane_b32 s30, v1
	s_mul_i32 s35, s18, s27
	s_mul_hi_u32 s31, s18, s27
	s_mul_hi_u32 s36, s19, s27
	s_mul_i32 s27, s19, s27
	s_mul_hi_u32 s37, s18, s30
	s_mul_hi_u32 s38, s19, s30
	s_mul_i32 s30, s19, s30
	s_add_u32 s35, s37, s35
	s_addc_u32 s31, 0, s31
	s_add_u32 s30, s35, s30
	s_addc_u32 s30, s31, s38
	s_addc_u32 s31, s36, 0
	s_add_u32 s30, s30, s27
	s_addc_u32 s31, 0, s31
	s_mul_hi_u32 s27, s28, s30
	s_mul_i32 s36, s28, s31
	s_mul_i32 s37, s28, s30
	s_add_i32 s27, s27, s36
	v_sub_co_u32 v1, s36, s18, s37
	s_mul_i32 s35, s29, s30
	s_add_i32 s27, s27, s35
	v_sub_co_u32 v2, s37, v1, s28
	s_sub_i32 s35, s19, s27
	s_cmp_lg_u32 s36, 0
	s_subb_u32 s35, s35, s29
	s_cmp_lg_u32 s37, 0
	v_readfirstlane_b32 s37, v2
	s_subb_u32 s35, s35, 0
	s_cmp_ge_u32 s35, s29
	s_cselect_b32 s38, -1, 0
	s_cmp_ge_u32 s37, s28
	s_cselect_b32 s37, -1, 0
	s_cmp_eq_u32 s35, s29
	s_cselect_b32 s35, s37, s38
	s_add_u32 s37, s30, 1
	s_addc_u32 s38, s31, 0
	s_add_u32 s39, s30, 2
	s_addc_u32 s40, s31, 0
	s_cmp_lg_u32 s35, 0
	s_cselect_b32 s35, s39, s37
	s_cselect_b32 s37, s40, s38
	s_cmp_lg_u32 s36, 0
	v_readfirstlane_b32 s36, v1
	s_subb_u32 s27, s19, s27
	s_cmp_ge_u32 s27, s29
	s_cselect_b32 s38, -1, 0
	s_cmp_ge_u32 s36, s28
	s_cselect_b32 s36, -1, 0
	s_cmp_eq_u32 s27, s29
	s_cselect_b32 s27, s36, s38
	s_cmp_lg_u32 s27, 0
	s_mov_b32 s27, 0
	s_cselect_b32 s31, s37, s31
	s_cselect_b32 s30, s35, s30
.LBB0_9:                                ;   in Loop: Header=BB0_7 Depth=1
	s_andn2_b32 vcc_lo, exec_lo, s27
	s_cbranch_vccnz .LBB0_11
; %bb.10:                               ;   in Loop: Header=BB0_7 Depth=1
	v_cvt_f32_u32_e32 v1, s28
	s_sub_i32 s30, 0, s28
	v_rcp_iflag_f32_e32 v1, v1
	v_mul_f32_e32 v1, 0x4f7ffffe, v1
	v_cvt_u32_f32_e32 v1, v1
	v_readfirstlane_b32 s27, v1
	s_mul_i32 s30, s30, s27
	s_mul_hi_u32 s30, s27, s30
	s_add_i32 s27, s27, s30
	s_mul_hi_u32 s27, s18, s27
	s_mul_i32 s30, s27, s28
	s_add_i32 s31, s27, 1
	s_sub_i32 s30, s18, s30
	s_sub_i32 s35, s30, s28
	s_cmp_ge_u32 s30, s28
	s_cselect_b32 s27, s31, s27
	s_cselect_b32 s30, s35, s30
	s_add_i32 s31, s27, 1
	s_cmp_ge_u32 s30, s28
	s_cselect_b32 s30, s31, s27
	s_mov_b32 s31, s26
.LBB0_11:                               ;   in Loop: Header=BB0_7 Depth=1
	s_load_dwordx2 s[36:37], s[22:23], 0x0
	s_mul_i32 s9, s28, s9
	s_mul_hi_u32 s27, s28, s8
	s_mul_i32 s35, s29, s8
	s_mul_i32 s29, s30, s29
	s_mul_hi_u32 s38, s30, s28
	s_mul_i32 s39, s31, s28
	s_add_i32 s9, s27, s9
	s_add_i32 s27, s38, s29
	s_mul_i32 s40, s30, s28
	s_add_i32 s9, s9, s35
	s_add_i32 s27, s27, s39
	s_sub_u32 s18, s18, s40
	s_subb_u32 s19, s19, s27
	s_mul_i32 s8, s28, s8
	s_waitcnt lgkmcnt(0)
	s_mul_i32 s19, s36, s19
	s_mul_hi_u32 s27, s36, s18
	s_add_i32 s19, s27, s19
	s_mul_i32 s27, s37, s18
	s_mul_i32 s18, s36, s18
	s_add_i32 s19, s19, s27
	s_add_u32 s3, s18, s3
	s_addc_u32 s34, s19, s34
	s_add_u32 s24, s24, 1
	s_addc_u32 s25, s25, 0
	s_add_u32 s22, s22, 8
	v_cmp_ge_u64_e64 s18, s[24:25], s[10:11]
	s_addc_u32 s23, s23, 0
	s_add_u32 s12, s12, 8
	s_addc_u32 s13, s13, 0
	s_and_b32 vcc_lo, exec_lo, s18
	s_cbranch_vccnz .LBB0_14
; %bb.12:                               ;   in Loop: Header=BB0_7 Depth=1
	s_mov_b64 s[18:19], s[30:31]
	s_branch .LBB0_7
.LBB0_13:
	v_mov_b32_e32 v1, s18
	v_mov_b32_e32 v2, s19
	s_branch .LBB0_16
.LBB0_14:
	v_cmp_lt_u64_e64 s7, s[6:7], s[8:9]
	v_mov_b32_e32 v1, 0
	v_mov_b32_e32 v2, 0
	s_and_b32 vcc_lo, exec_lo, s7
	s_cbranch_vccnz .LBB0_16
; %bb.15:
	v_cvt_f32_u32_e32 v1, s8
	s_sub_i32 s7, 0, s8
	v_rcp_iflag_f32_e32 v1, v1
	v_mul_f32_e32 v1, 0x4f7ffffe, v1
	v_cvt_u32_f32_e32 v1, v1
	v_mul_lo_u32 v2, s7, v1
	v_mul_hi_u32 v2, v1, v2
	v_add_nc_u32_e32 v1, v1, v2
	v_mul_hi_u32 v1, s6, v1
	v_mul_lo_u32 v2, v1, s8
	v_add_nc_u32_e32 v3, 1, v1
	v_sub_nc_u32_e32 v2, s6, v2
	v_subrev_nc_u32_e32 v4, s8, v2
	v_cmp_le_u32_e32 vcc_lo, s8, v2
	v_cndmask_b32_e32 v2, v2, v4, vcc_lo
	v_cndmask_b32_e32 v1, v1, v3, vcc_lo
	v_cmp_le_u32_e32 vcc_lo, s8, v2
	v_add_nc_u32_e32 v3, 1, v1
	v_cndmask_b32_e32 v1, v1, v3, vcc_lo
.LBB0_16:
	s_lshl_b64 s[6:7], s[10:11], 3
	v_mul_hi_u32 v71, 0x15555556, v0
	s_add_u32 s6, s14, s6
	s_addc_u32 s7, s15, s7
	s_mov_b32 s19, 0x31014000
	s_load_dword s6, s[6:7], 0x0
	s_mov_b32 s18, -2
	s_mov_b32 s14, 0x4267c47c
	s_mov_b32 s8, 0x42a4c3d2
	v_mul_u32_u24_e32 v2, 12, v71
	s_mov_b32 s26, 0x2ef20147
	s_mov_b32 s34, 0x24c2f84
	;; [unrolled: 1-line block ×4, first 2 shown]
	v_sub_nc_u32_e32 v72, v0, v2
	v_mul_lo_u32 v2, s0, v71
	s_mov_b32 s9, 0xbfea55e2
	s_mov_b32 s27, 0xbfedeba7
	;; [unrolled: 1-line block ×3, first 2 shown]
	v_mul_lo_u32 v70, s2, v72
	s_mov_b32 s41, 0xbfcea1e5
	s_mov_b32 s22, 0xe00740e9
	;; [unrolled: 1-line block ×5, first 2 shown]
	s_waitcnt lgkmcnt(0)
	v_mul_lo_u32 v1, s6, v1
	s_add_u32 s6, s33, 12
	s_addc_u32 s7, s1, 0
	v_add_lshl_u32 v2, v70, v2, 4
	s_mov_b32 s42, 0x93053d00
	s_mov_b32 s23, 0x3fec55a7
	;; [unrolled: 1-line block ×4, first 2 shown]
	v_add_nc_u32_e32 v1, s3, v1
	v_add_co_u32 v33, s3, s33, v72
	v_add_co_ci_u32_e64 v34, null, s1, 0, s3
	v_cmp_le_u64_e64 s1, s[6:7], s[4:5]
	v_lshlrev_b32_e32 v1, 4, v1
	s_mov_b32 s2, 0x66966769
	v_cmp_gt_u64_e32 vcc_lo, s[4:5], v[33:34]
	s_mov_b32 s3, 0xbfefc445
	s_mov_b32 s4, 0xebaa3ed8
	;; [unrolled: 1-line block ×5, first 2 shown]
	s_or_b32 vcc_lo, s1, vcc_lo
	v_readfirstlane_b32 s1, v1
	v_add_nc_u32_e32 v1, 13, v71
	v_cndmask_b32_e32 v2, -1, v2, vcc_lo
	s_mov_b32 s25, 0x3fddbe06
	s_mov_b32 s24, s14
	;; [unrolled: 1-line block ×3, first 2 shown]
	v_mul_lo_u32 v1, s0, v1
	buffer_load_dwordx4 v[21:24], v2, s[16:19], s1 offen
	s_mov_b32 s12, s8
	s_mov_b32 s7, 0x3fefc445
	;; [unrolled: 1-line block ×6, first 2 shown]
	v_add_lshl_u32 v1, v70, v1, 4
	s_mov_b32 s38, s34
	s_mov_b32 s45, 0x3fcea1e5
	;; [unrolled: 1-line block ×3, first 2 shown]
	v_mul_hi_u32 v0, 0x1a41a42, v0
	v_cndmask_b32_e32 v1, -1, v1, vcc_lo
	buffer_load_dwordx4 v[34:37], v1, s[16:19], s1 offen
	v_add_nc_u32_e32 v1, 26, v71
	v_mul_lo_u32 v1, s0, v1
	v_add_lshl_u32 v1, v70, v1, 4
	v_cndmask_b32_e32 v1, -1, v1, vcc_lo
	buffer_load_dwordx4 v[38:41], v1, s[16:19], s1 offen
	v_add_nc_u32_e32 v1, 39, v71
	v_mul_lo_u32 v1, s0, v1
	v_add_lshl_u32 v1, v70, v1, 4
	;; [unrolled: 5-line block ×11, first 2 shown]
	v_cndmask_b32_e32 v1, -1, v1, vcc_lo
	buffer_load_dwordx4 v[54:57], v1, s[16:19], s1 offen
	s_waitcnt vmcnt(11)
	v_add_f64 v[1:2], v[21:22], v[34:35]
	v_add_f64 v[3:4], v[23:24], v[36:37]
	s_waitcnt vmcnt(10)
	v_add_f64 v[1:2], v[1:2], v[38:39]
	v_add_f64 v[3:4], v[3:4], v[40:41]
	s_waitcnt vmcnt(9)
	v_add_f64 v[1:2], v[1:2], v[42:43]
	v_add_f64 v[3:4], v[3:4], v[44:45]
	s_waitcnt vmcnt(8)
	v_add_f64 v[1:2], v[1:2], v[25:26]
	v_add_f64 v[3:4], v[3:4], v[27:28]
	s_waitcnt vmcnt(7)
	v_add_f64 v[1:2], v[1:2], v[13:14]
	v_add_f64 v[3:4], v[3:4], v[15:16]
	s_waitcnt vmcnt(6)
	v_add_f64 v[1:2], v[1:2], v[5:6]
	v_add_f64 v[3:4], v[3:4], v[7:8]
	s_waitcnt vmcnt(5)
	v_add_f64 v[1:2], v[1:2], v[9:10]
	v_add_f64 v[3:4], v[3:4], v[11:12]
	s_waitcnt vmcnt(4)
	v_add_f64 v[1:2], v[1:2], v[17:18]
	v_add_f64 v[3:4], v[3:4], v[19:20]
	s_waitcnt vmcnt(3)
	v_add_f64 v[1:2], v[1:2], v[29:30]
	v_add_f64 v[3:4], v[3:4], v[31:32]
	s_waitcnt vmcnt(2)
	v_add_f64 v[1:2], v[1:2], v[46:47]
	v_add_f64 v[3:4], v[3:4], v[48:49]
	s_waitcnt vmcnt(1)
	v_add_f64 v[1:2], v[1:2], v[50:51]
	v_add_f64 v[3:4], v[3:4], v[52:53]
	s_waitcnt vmcnt(0)
	v_add_f64 v[60:61], v[36:37], v[56:57]
	v_add_f64 v[36:37], v[36:37], -v[56:57]
	v_add_f64 v[1:2], v[1:2], v[54:55]
	v_add_f64 v[58:59], v[34:35], v[54:55]
	v_add_f64 v[34:35], v[34:35], -v[54:55]
	v_add_f64 v[3:4], v[3:4], v[56:57]
	v_mul_f64 v[62:63], v[60:61], s[22:23]
	v_mul_f64 v[54:55], v[36:37], s[14:15]
	;; [unrolled: 1-line block ×12, first 2 shown]
	v_fma_f64 v[64:65], v[34:35], s[24:25], v[62:63]
	v_fma_f64 v[56:57], v[58:59], s[22:23], v[54:55]
	v_fma_f64 v[54:55], v[58:59], s[22:23], -v[54:55]
	v_fma_f64 v[68:69], v[58:59], s[10:11], v[66:67]
	v_fma_f64 v[66:67], v[58:59], s[10:11], -v[66:67]
	;; [unrolled: 2-line block ×6, first 2 shown]
	v_fma_f64 v[62:63], v[34:35], s[14:15], v[62:63]
	v_fma_f64 v[75:76], v[34:35], s[12:13], v[73:74]
	;; [unrolled: 1-line block ×10, first 2 shown]
	v_add_f64 v[56:57], v[21:22], v[56:57]
	v_add_f64 v[54:55], v[21:22], v[54:55]
	;; [unrolled: 1-line block ×12, first 2 shown]
	v_fma_f64 v[34:35], v[34:35], s[40:41], v[60:61]
	v_add_f64 v[36:37], v[40:41], v[52:53]
	v_add_f64 v[40:41], v[40:41], -v[52:53]
	v_add_f64 v[64:65], v[23:24], v[64:65]
	v_add_f64 v[62:63], v[23:24], v[62:63]
	;; [unrolled: 1-line block ×13, first 2 shown]
	v_add_f64 v[38:39], v[38:39], -v[50:51]
	v_mul_f64 v[50:51], v[40:41], s[8:9]
	v_fma_f64 v[52:53], v[34:35], s[10:11], v[50:51]
	v_fma_f64 v[50:51], v[34:35], s[10:11], -v[50:51]
	v_add_f64 v[52:53], v[52:53], v[56:57]
	v_mul_f64 v[56:57], v[36:37], s[10:11]
	v_add_f64 v[50:51], v[50:51], v[54:55]
	v_fma_f64 v[58:59], v[38:39], s[12:13], v[56:57]
	v_fma_f64 v[54:55], v[38:39], s[8:9], v[56:57]
	v_mul_f64 v[56:57], v[40:41], s[26:27]
	v_add_f64 v[58:59], v[58:59], v[64:65]
	v_add_f64 v[54:55], v[54:55], v[62:63]
	v_fma_f64 v[60:61], v[34:35], s[28:29], v[56:57]
	v_fma_f64 v[56:57], v[34:35], s[28:29], -v[56:57]
	v_mul_f64 v[62:63], v[36:37], s[28:29]
	v_add_f64 v[60:61], v[60:61], v[68:69]
	v_add_f64 v[56:57], v[56:57], v[66:67]
	v_mul_f64 v[66:67], v[40:41], s[40:41]
	v_fma_f64 v[64:65], v[38:39], s[30:31], v[62:63]
	v_fma_f64 v[62:63], v[38:39], s[26:27], v[62:63]
	;; [unrolled: 1-line block ×3, first 2 shown]
	v_fma_f64 v[66:67], v[34:35], s[42:43], -v[66:67]
	v_add_f64 v[62:63], v[62:63], v[73:74]
	v_mul_f64 v[73:74], v[36:37], s[42:43]
	v_add_f64 v[64:65], v[64:65], v[75:76]
	v_add_f64 v[68:69], v[68:69], v[79:80]
	;; [unrolled: 1-line block ×3, first 2 shown]
	v_mul_f64 v[77:78], v[40:41], s[38:39]
	v_fma_f64 v[75:76], v[38:39], s[44:45], v[73:74]
	v_fma_f64 v[73:74], v[38:39], s[40:41], v[73:74]
	;; [unrolled: 1-line block ×3, first 2 shown]
	v_fma_f64 v[77:78], v[34:35], s[36:37], -v[77:78]
	v_add_f64 v[73:74], v[73:74], v[81:82]
	v_mul_f64 v[81:82], v[36:37], s[36:37]
	v_add_f64 v[75:76], v[75:76], v[83:84]
	v_add_f64 v[79:80], v[79:80], v[87:88]
	v_add_f64 v[77:78], v[77:78], v[85:86]
	v_mul_f64 v[85:86], v[40:41], s[6:7]
	v_fma_f64 v[83:84], v[38:39], s[34:35], v[81:82]
	v_fma_f64 v[81:82], v[38:39], s[38:39], v[81:82]
	v_mul_f64 v[40:41], v[40:41], s[24:25]
	v_fma_f64 v[87:88], v[34:35], s[4:5], v[85:86]
	v_fma_f64 v[85:86], v[34:35], s[4:5], -v[85:86]
	v_add_f64 v[81:82], v[81:82], v[89:90]
	v_mul_f64 v[89:90], v[36:37], s[4:5]
	v_mul_f64 v[36:37], v[36:37], s[22:23]
	v_add_f64 v[83:84], v[83:84], v[91:92]
	v_add_f64 v[87:88], v[87:88], v[95:96]
	;; [unrolled: 1-line block ×3, first 2 shown]
	v_fma_f64 v[93:94], v[34:35], s[22:23], v[40:41]
	v_fma_f64 v[34:35], v[34:35], s[22:23], -v[40:41]
	v_add_f64 v[40:41], v[44:45], -v[48:49]
	v_fma_f64 v[91:92], v[38:39], s[2:3], v[89:90]
	v_fma_f64 v[89:90], v[38:39], s[6:7], v[89:90]
	;; [unrolled: 1-line block ×3, first 2 shown]
	v_add_f64 v[93:94], v[93:94], v[101:102]
	v_add_f64 v[21:22], v[34:35], v[21:22]
	v_fma_f64 v[34:35], v[38:39], s[24:25], v[36:37]
	v_add_f64 v[38:39], v[42:43], -v[46:47]
	v_add_f64 v[36:37], v[44:45], v[48:49]
	v_add_f64 v[89:90], v[89:90], v[97:98]
	;; [unrolled: 1-line block ×6, first 2 shown]
	v_mul_f64 v[42:43], v[40:41], s[2:3]
	v_mul_f64 v[46:47], v[36:37], s[4:5]
	v_fma_f64 v[44:45], v[34:35], s[4:5], v[42:43]
	v_fma_f64 v[42:43], v[34:35], s[4:5], -v[42:43]
	v_fma_f64 v[48:49], v[38:39], s[6:7], v[46:47]
	v_fma_f64 v[46:47], v[38:39], s[2:3], v[46:47]
	v_add_f64 v[44:45], v[44:45], v[52:53]
	v_add_f64 v[42:43], v[42:43], v[50:51]
	v_mul_f64 v[50:51], v[40:41], s[40:41]
	v_add_f64 v[46:47], v[46:47], v[54:55]
	v_mul_f64 v[54:55], v[36:37], s[42:43]
	v_add_f64 v[48:49], v[48:49], v[58:59]
	v_fma_f64 v[52:53], v[34:35], s[42:43], v[50:51]
	v_fma_f64 v[50:51], v[34:35], s[42:43], -v[50:51]
	v_fma_f64 v[58:59], v[38:39], s[44:45], v[54:55]
	v_fma_f64 v[54:55], v[38:39], s[40:41], v[54:55]
	v_add_f64 v[52:53], v[52:53], v[60:61]
	v_add_f64 v[50:51], v[50:51], v[56:57]
	v_mul_f64 v[56:57], v[40:41], s[30:31]
	v_add_f64 v[54:55], v[54:55], v[62:63]
	v_mul_f64 v[62:63], v[36:37], s[28:29]
	v_add_f64 v[58:59], v[58:59], v[64:65]
	;; [unrolled: 10-line block ×3, first 2 shown]
	v_fma_f64 v[68:69], v[34:35], s[22:23], v[66:67]
	v_fma_f64 v[66:67], v[34:35], s[22:23], -v[66:67]
	v_fma_f64 v[75:76], v[38:39], s[14:15], v[73:74]
	v_fma_f64 v[73:74], v[38:39], s[24:25], v[73:74]
	v_add_f64 v[68:69], v[68:69], v[79:80]
	v_add_f64 v[66:67], v[66:67], v[77:78]
	v_mul_f64 v[77:78], v[40:41], s[8:9]
	v_mul_f64 v[40:41], v[40:41], s[34:35]
	v_add_f64 v[73:74], v[73:74], v[81:82]
	v_mul_f64 v[81:82], v[36:37], s[10:11]
	v_mul_f64 v[36:37], v[36:37], s[36:37]
	v_add_f64 v[75:76], v[75:76], v[83:84]
	v_fma_f64 v[79:80], v[34:35], s[10:11], v[77:78]
	v_fma_f64 v[77:78], v[34:35], s[10:11], -v[77:78]
	v_fma_f64 v[83:84], v[38:39], s[12:13], v[81:82]
	v_fma_f64 v[81:82], v[38:39], s[8:9], v[81:82]
	v_add_f64 v[79:80], v[79:80], v[87:88]
	v_add_f64 v[77:78], v[77:78], v[85:86]
	v_fma_f64 v[85:86], v[34:35], s[36:37], v[40:41]
	v_fma_f64 v[34:35], v[34:35], s[36:37], -v[40:41]
	v_fma_f64 v[87:88], v[38:39], s[38:39], v[36:37]
	v_add_f64 v[81:82], v[81:82], v[89:90]
	v_add_f64 v[83:84], v[83:84], v[91:92]
	;; [unrolled: 1-line block ×4, first 2 shown]
	v_fma_f64 v[34:35], v[38:39], s[34:35], v[36:37]
	v_add_f64 v[36:37], v[27:28], v[31:32]
	v_add_f64 v[27:28], v[27:28], -v[31:32]
	v_add_f64 v[87:88], v[87:88], v[95:96]
	v_add_f64 v[93:94], v[13:14], v[17:18]
	v_add_f64 v[95:96], v[13:14], -v[17:18]
	v_add_f64 v[23:24], v[34:35], v[23:24]
	v_add_f64 v[34:35], v[25:26], v[29:30]
	v_add_f64 v[25:26], v[25:26], -v[29:30]
	v_mul_f64 v[38:39], v[36:37], s[28:29]
	v_mul_f64 v[29:30], v[27:28], s[26:27]
	v_fma_f64 v[40:41], v[25:26], s[30:31], v[38:39]
	v_fma_f64 v[38:39], v[25:26], s[26:27], v[38:39]
	;; [unrolled: 1-line block ×3, first 2 shown]
	v_fma_f64 v[29:30], v[34:35], s[28:29], -v[29:30]
	v_add_f64 v[40:41], v[40:41], v[48:49]
	v_add_f64 v[38:39], v[38:39], v[46:47]
	v_mul_f64 v[46:47], v[36:37], s[36:37]
	v_add_f64 v[29:30], v[29:30], v[42:43]
	v_mul_f64 v[42:43], v[27:28], s[38:39]
	v_add_f64 v[31:32], v[31:32], v[44:45]
	v_fma_f64 v[48:49], v[25:26], s[34:35], v[46:47]
	v_fma_f64 v[46:47], v[25:26], s[38:39], v[46:47]
	;; [unrolled: 1-line block ×3, first 2 shown]
	v_fma_f64 v[42:43], v[34:35], s[36:37], -v[42:43]
	v_add_f64 v[48:49], v[48:49], v[58:59]
	v_add_f64 v[46:47], v[46:47], v[54:55]
	v_mul_f64 v[54:55], v[36:37], s[22:23]
	v_add_f64 v[42:43], v[42:43], v[50:51]
	v_mul_f64 v[50:51], v[27:28], s[24:25]
	v_add_f64 v[44:45], v[44:45], v[52:53]
	v_fma_f64 v[58:59], v[25:26], s[14:15], v[54:55]
	v_fma_f64 v[54:55], v[25:26], s[24:25], v[54:55]
	;; [unrolled: 1-line block ×3, first 2 shown]
	v_fma_f64 v[50:51], v[34:35], s[22:23], -v[50:51]
	v_add_f64 v[64:65], v[58:59], v[64:65]
	v_add_f64 v[62:63], v[54:55], v[62:63]
	v_mul_f64 v[54:55], v[27:28], s[2:3]
	v_add_f64 v[50:51], v[50:51], v[56:57]
	v_add_f64 v[52:53], v[52:53], v[60:61]
	v_fma_f64 v[56:57], v[34:35], s[4:5], v[54:55]
	v_fma_f64 v[54:55], v[34:35], s[4:5], -v[54:55]
	v_add_f64 v[68:69], v[56:57], v[68:69]
	v_mul_f64 v[56:57], v[36:37], s[4:5]
	v_add_f64 v[66:67], v[54:55], v[66:67]
	v_fma_f64 v[54:55], v[25:26], s[2:3], v[56:57]
	v_fma_f64 v[58:59], v[25:26], s[6:7], v[56:57]
	v_add_f64 v[73:74], v[54:55], v[73:74]
	v_mul_f64 v[54:55], v[27:28], s[44:45]
	v_mul_f64 v[27:28], v[27:28], s[12:13]
	v_add_f64 v[75:76], v[58:59], v[75:76]
	v_fma_f64 v[56:57], v[34:35], s[42:43], v[54:55]
	v_fma_f64 v[54:55], v[34:35], s[42:43], -v[54:55]
	v_add_f64 v[79:80], v[56:57], v[79:80]
	v_mul_f64 v[56:57], v[36:37], s[42:43]
	v_add_f64 v[77:78], v[54:55], v[77:78]
	v_mul_f64 v[36:37], v[36:37], s[10:11]
	v_fma_f64 v[54:55], v[25:26], s[44:45], v[56:57]
	v_fma_f64 v[58:59], v[25:26], s[40:41], v[56:57]
	v_add_f64 v[81:82], v[54:55], v[81:82]
	v_fma_f64 v[54:55], v[34:35], s[10:11], v[27:28]
	v_fma_f64 v[27:28], v[34:35], s[10:11], -v[27:28]
	v_add_f64 v[34:35], v[15:16], v[19:20]
	v_add_f64 v[83:84], v[58:59], v[83:84]
	;; [unrolled: 1-line block ×3, first 2 shown]
	v_fma_f64 v[54:55], v[25:26], s[8:9], v[36:37]
	v_add_f64 v[89:90], v[27:28], v[21:22]
	v_fma_f64 v[21:22], v[25:26], s[12:13], v[36:37]
	v_add_f64 v[36:37], v[15:16], -v[19:20]
	v_mul_f64 v[27:28], v[34:35], s[10:11]
	v_add_f64 v[87:88], v[54:55], v[87:88]
	v_add_f64 v[91:92], v[21:22], v[23:24]
	v_mul_f64 v[13:14], v[36:37], s[34:35]
	v_mul_f64 v[21:22], v[34:35], s[4:5]
	;; [unrolled: 1-line block ×3, first 2 shown]
	v_fma_f64 v[23:24], v[95:96], s[12:13], v[27:28]
	v_fma_f64 v[27:28], v[95:96], s[8:9], v[27:28]
	;; [unrolled: 1-line block ×3, first 2 shown]
	v_fma_f64 v[13:14], v[93:94], s[36:37], -v[13:14]
	v_add_f64 v[23:24], v[23:24], v[64:65]
	v_add_f64 v[27:28], v[27:28], v[62:63]
	v_mul_f64 v[62:63], v[34:35], s[28:29]
	v_add_f64 v[64:65], v[5:6], v[9:10]
	v_add_f64 v[60:61], v[15:16], v[31:32]
	v_mul_f64 v[15:16], v[34:35], s[36:37]
	v_add_f64 v[56:57], v[13:14], v[29:30]
	v_mul_f64 v[29:30], v[36:37], s[44:45]
	v_fma_f64 v[17:18], v[95:96], s[38:39], v[15:16]
	v_fma_f64 v[13:14], v[95:96], s[34:35], v[15:16]
	v_mul_f64 v[15:16], v[36:37], s[6:7]
	v_fma_f64 v[31:32], v[93:94], s[42:43], v[29:30]
	v_fma_f64 v[29:30], v[93:94], s[42:43], -v[29:30]
	v_add_f64 v[58:59], v[17:18], v[40:41]
	v_add_f64 v[19:20], v[13:14], v[38:39]
	v_fma_f64 v[13:14], v[93:94], s[4:5], v[15:16]
	v_fma_f64 v[15:16], v[93:94], s[4:5], -v[15:16]
	v_add_f64 v[17:18], v[13:14], v[44:45]
	v_fma_f64 v[13:14], v[95:96], s[2:3], v[21:22]
	v_fma_f64 v[21:22], v[95:96], s[6:7], v[21:22]
	v_add_f64 v[15:16], v[15:16], v[42:43]
	v_add_f64 v[13:14], v[13:14], v[48:49]
	;; [unrolled: 1-line block ×3, first 2 shown]
	v_fma_f64 v[21:22], v[93:94], s[10:11], v[25:26]
	v_add_f64 v[48:49], v[29:30], v[66:67]
	v_fma_f64 v[25:26], v[93:94], s[10:11], -v[25:26]
	v_add_f64 v[66:67], v[7:8], v[11:12]
	v_add_f64 v[21:22], v[21:22], v[52:53]
	;; [unrolled: 1-line block ×3, first 2 shown]
	v_mul_f64 v[31:32], v[34:35], s[42:43]
	v_add_f64 v[25:26], v[25:26], v[50:51]
	v_add_f64 v[68:69], v[7:8], -v[11:12]
	v_mul_f64 v[11:12], v[66:67], s[42:43]
	v_fma_f64 v[29:30], v[95:96], s[44:45], v[31:32]
	v_fma_f64 v[38:39], v[95:96], s[40:41], v[31:32]
	v_add_f64 v[46:47], v[29:30], v[73:74]
	v_mul_f64 v[29:30], v[36:37], s[24:25]
	v_add_f64 v[50:51], v[38:39], v[75:76]
	v_fma_f64 v[31:32], v[93:94], s[22:23], v[29:30]
	v_fma_f64 v[29:30], v[93:94], s[22:23], -v[29:30]
	v_add_f64 v[44:45], v[31:32], v[79:80]
	v_mul_f64 v[31:32], v[34:35], s[22:23]
	v_add_f64 v[40:41], v[29:30], v[77:78]
	v_fma_f64 v[38:39], v[95:96], s[14:15], v[31:32]
	v_fma_f64 v[29:30], v[95:96], s[24:25], v[31:32]
	v_add_f64 v[42:43], v[38:39], v[83:84]
	v_add_f64 v[38:39], v[29:30], v[81:82]
	v_mul_f64 v[29:30], v[36:37], s[26:27]
	v_fma_f64 v[31:32], v[93:94], s[28:29], v[29:30]
	v_fma_f64 v[29:30], v[93:94], s[28:29], -v[29:30]
	v_add_f64 v[36:37], v[31:32], v[85:86]
	v_fma_f64 v[31:32], v[95:96], s[30:31], v[62:63]
	v_add_f64 v[34:35], v[31:32], v[87:88]
	v_add_f64 v[31:32], v[29:30], v[89:90]
	v_fma_f64 v[29:30], v[95:96], s[26:27], v[62:63]
	v_add_f64 v[62:63], v[5:6], -v[9:10]
	v_mul_f64 v[9:10], v[68:69], s[40:41]
	v_add_f64 v[29:30], v[29:30], v[91:92]
	v_fma_f64 v[7:8], v[62:63], s[44:45], v[11:12]
	v_fma_f64 v[5:6], v[64:65], s[42:43], v[9:10]
	v_fma_f64 v[9:10], v[64:65], s[42:43], -v[9:10]
	v_fma_f64 v[11:12], v[62:63], s[40:41], v[11:12]
	v_add_f64 v[7:8], v[7:8], v[58:59]
	v_mul_f64 v[58:59], v[66:67], s[22:23]
	v_add_f64 v[9:10], v[9:10], v[56:57]
	v_mul_f64 v[56:57], v[68:69], s[24:25]
	v_add_f64 v[11:12], v[11:12], v[19:20]
	v_add_f64 v[5:6], v[5:6], v[60:61]
	v_fma_f64 v[19:20], v[64:65], s[22:23], v[56:57]
	v_add_f64 v[17:18], v[19:20], v[17:18]
	v_fma_f64 v[19:20], v[62:63], s[14:15], v[58:59]
	v_add_f64 v[19:20], v[19:20], v[13:14]
	v_fma_f64 v[13:14], v[64:65], s[22:23], -v[56:57]
	v_add_f64 v[13:14], v[13:14], v[15:16]
	v_fma_f64 v[15:16], v[62:63], s[24:25], v[58:59]
	v_add_f64 v[15:16], v[15:16], v[54:55]
	v_mul_f64 v[54:55], v[68:69], s[34:35]
	v_fma_f64 v[56:57], v[64:65], s[36:37], v[54:55]
	v_fma_f64 v[54:55], v[64:65], s[36:37], -v[54:55]
	v_add_f64 v[21:22], v[56:57], v[21:22]
	v_mul_f64 v[56:57], v[66:67], s[36:37]
	v_add_f64 v[25:26], v[54:55], v[25:26]
	v_fma_f64 v[58:59], v[62:63], s[38:39], v[56:57]
	v_fma_f64 v[54:55], v[62:63], s[34:35], v[56:57]
	v_mul_f64 v[56:57], v[68:69], s[12:13]
	v_add_f64 v[23:24], v[58:59], v[23:24]
	v_add_f64 v[27:28], v[54:55], v[27:28]
	v_fma_f64 v[54:55], v[64:65], s[10:11], v[56:57]
	v_mul_f64 v[58:59], v[66:67], s[10:11]
	v_add_f64 v[52:53], v[54:55], v[52:53]
	v_fma_f64 v[54:55], v[62:63], s[8:9], v[58:59]
	v_add_f64 v[54:55], v[54:55], v[50:51]
	v_fma_f64 v[50:51], v[64:65], s[10:11], -v[56:57]
	v_mul_f64 v[56:57], v[68:69], s[26:27]
	v_add_f64 v[48:49], v[50:51], v[48:49]
	v_fma_f64 v[50:51], v[62:63], s[12:13], v[58:59]
	v_mul_f64 v[58:59], v[66:67], s[28:29]
	v_add_f64 v[50:51], v[50:51], v[46:47]
	v_fma_f64 v[46:47], v[64:65], s[28:29], v[56:57]
	v_add_f64 v[44:45], v[46:47], v[44:45]
	v_fma_f64 v[46:47], v[62:63], s[30:31], v[58:59]
	v_add_f64 v[46:47], v[46:47], v[42:43]
	v_fma_f64 v[42:43], v[64:65], s[28:29], -v[56:57]
	v_mul_f64 v[56:57], v[68:69], s[6:7]
	v_add_f64 v[40:41], v[42:43], v[40:41]
	v_fma_f64 v[42:43], v[62:63], s[26:27], v[58:59]
	v_mul_f64 v[58:59], v[66:67], s[4:5]
	v_add_f64 v[42:43], v[42:43], v[38:39]
	v_fma_f64 v[38:39], v[64:65], s[4:5], v[56:57]
	v_add_f64 v[36:37], v[38:39], v[36:37]
	v_fma_f64 v[38:39], v[62:63], s[2:3], v[58:59]
	v_add_f64 v[38:39], v[38:39], v[34:35]
	v_fma_f64 v[34:35], v[64:65], s[4:5], -v[56:57]
	v_add_f64 v[56:57], v[34:35], v[31:32]
	v_fma_f64 v[31:32], v[62:63], s[6:7], v[58:59]
	v_add_f64 v[58:59], v[31:32], v[29:30]
	v_mul_u32_u24_e32 v29, 0x9c0, v71
	v_lshlrev_b32_e32 v30, 4, v72
	v_add3_u32 v29, 0, v29, v30
	ds_write_b128 v29, v[1:4]
	ds_write_b128 v29, v[5:8] offset:192
	ds_write_b128 v29, v[17:20] offset:384
	;; [unrolled: 1-line block ×12, first 2 shown]
	v_mad_i32_i24 v5, 0xfffff700, v71, v29
	s_waitcnt lgkmcnt(0)
	s_barrier
	buffer_gl0_inv
	ds_read_b128 v[7:10], v5
	ds_read_b128 v[1:4], v5 offset:2496
	ds_read_b128 v[11:14], v5 offset:4992
	;; [unrolled: 1-line block ×12, first 2 shown]
	v_mul_hi_u32 v5, 0x13b13b14, v71
	v_mul_u32_u24_e32 v5, 13, v5
	v_sub_nc_u32_e32 v57, v71, v5
	v_mul_u32_u24_e32 v5, 12, v57
	v_mad_u32_u24 v0, 0xa9, v0, v57
	v_lshlrev_b32_e32 v56, 4, v5
	s_clause 0x3
	global_load_dwordx4 v[62:65], v56, s[20:21] offset:48
	global_load_dwordx4 v[66:69], v56, s[20:21] offset:32
	global_load_dwordx4 v[71:74], v56, s[20:21] offset:16
	global_load_dwordx4 v[75:78], v56, s[20:21]
	s_waitcnt vmcnt(0) lgkmcnt(11)
	v_mul_f64 v[5:6], v[3:4], v[77:78]
	v_fma_f64 v[31:32], v[1:2], v[75:76], v[5:6]
	v_mul_f64 v[1:2], v[1:2], v[77:78]
	v_fma_f64 v[54:55], v[3:4], v[75:76], -v[1:2]
	s_waitcnt lgkmcnt(10)
	v_mul_f64 v[1:2], v[13:14], v[73:74]
	v_fma_f64 v[75:76], v[11:12], v[71:72], v[1:2]
	v_mul_f64 v[1:2], v[11:12], v[73:74]
	v_fma_f64 v[71:72], v[13:14], v[71:72], -v[1:2]
	s_waitcnt lgkmcnt(9)
	;; [unrolled: 5-line block ×3, first 2 shown]
	v_mul_f64 v[1:2], v[21:22], v[64:65]
	v_fma_f64 v[68:69], v[19:20], v[62:63], v[1:2]
	v_mul_f64 v[1:2], v[19:20], v[64:65]
	v_fma_f64 v[62:63], v[21:22], v[62:63], -v[1:2]
	s_clause 0x3
	global_load_dwordx4 v[1:4], v56, s[20:21] offset:112
	global_load_dwordx4 v[11:14], v56, s[20:21] offset:96
	;; [unrolled: 1-line block ×4, first 2 shown]
	s_waitcnt vmcnt(0) lgkmcnt(7)
	v_mul_f64 v[5:6], v[25:26], v[21:22]
	v_fma_f64 v[64:65], v[23:24], v[19:20], v[5:6]
	v_mul_f64 v[5:6], v[23:24], v[21:22]
	v_fma_f64 v[23:24], v[25:26], v[19:20], -v[5:6]
	s_waitcnt lgkmcnt(6)
	v_mul_f64 v[5:6], v[29:30], v[17:18]
	v_fma_f64 v[25:26], v[27:28], v[15:16], v[5:6]
	v_mul_f64 v[5:6], v[27:28], v[17:18]
	v_fma_f64 v[27:28], v[29:30], v[15:16], -v[5:6]
	s_waitcnt lgkmcnt(5)
	;; [unrolled: 5-line block ×3, first 2 shown]
	v_mul_f64 v[5:6], v[40:41], v[3:4]
	v_mul_f64 v[3:4], v[38:39], v[3:4]
	v_fma_f64 v[36:37], v[38:39], v[1:2], v[5:6]
	v_fma_f64 v[38:39], v[40:41], v[1:2], -v[3:4]
	s_clause 0x3
	global_load_dwordx4 v[1:4], v56, s[20:21] offset:176
	global_load_dwordx4 v[11:14], v56, s[20:21] offset:160
	;; [unrolled: 1-line block ×4, first 2 shown]
	s_waitcnt vmcnt(0) lgkmcnt(3)
	v_mul_f64 v[5:6], v[44:45], v[21:22]
	v_fma_f64 v[40:41], v[42:43], v[19:20], v[5:6]
	v_mul_f64 v[5:6], v[42:43], v[21:22]
	v_fma_f64 v[19:20], v[44:45], v[19:20], -v[5:6]
	s_waitcnt lgkmcnt(2)
	v_mul_f64 v[5:6], v[48:49], v[17:18]
	v_fma_f64 v[21:22], v[46:47], v[15:16], v[5:6]
	v_mul_f64 v[5:6], v[46:47], v[17:18]
	v_fma_f64 v[15:16], v[48:49], v[15:16], -v[5:6]
	s_waitcnt lgkmcnt(1)
	v_mul_f64 v[5:6], v[52:53], v[13:14]
	v_fma_f64 v[17:18], v[50:51], v[11:12], v[5:6]
	v_mul_f64 v[5:6], v[50:51], v[13:14]
	v_fma_f64 v[11:12], v[52:53], v[11:12], -v[5:6]
	s_waitcnt lgkmcnt(0)
	v_mul_f64 v[5:6], v[60:61], v[3:4]
	v_mul_f64 v[3:4], v[58:59], v[3:4]
	v_fma_f64 v[13:14], v[58:59], v[1:2], v[5:6]
	v_add_f64 v[5:6], v[9:10], v[54:55]
	v_fma_f64 v[1:2], v[60:61], v[1:2], -v[3:4]
	v_add_f64 v[3:4], v[7:8], v[31:32]
	v_add_f64 v[42:43], v[31:32], v[13:14]
	;; [unrolled: 1-line block ×6, first 2 shown]
	v_mul_f64 v[48:49], v[44:45], s[22:23]
	v_add_f64 v[3:4], v[3:4], v[73:74]
	v_mul_f64 v[58:59], v[44:45], s[10:11]
	v_mul_f64 v[81:82], v[44:45], s[4:5]
	;; [unrolled: 1-line block ×5, first 2 shown]
	v_add_f64 v[5:6], v[5:6], v[62:63]
	v_add_f64 v[3:4], v[3:4], v[68:69]
	;; [unrolled: 1-line block ×17, first 2 shown]
	v_add_f64 v[1:2], v[54:55], -v[1:2]
	v_add_f64 v[3:4], v[3:4], v[13:14]
	v_add_f64 v[13:14], v[31:32], -v[13:14]
	v_mul_f64 v[31:32], v[1:2], s[14:15]
	v_mul_f64 v[52:53], v[1:2], s[8:9]
	;; [unrolled: 1-line block ×6, first 2 shown]
	v_fma_f64 v[50:51], v[13:14], s[24:25], v[48:49]
	v_fma_f64 v[48:49], v[13:14], s[14:15], v[48:49]
	;; [unrolled: 1-line block ×12, first 2 shown]
	v_fma_f64 v[31:32], v[42:43], s[22:23], -v[31:32]
	v_fma_f64 v[54:55], v[42:43], s[10:11], v[52:53]
	v_fma_f64 v[52:53], v[42:43], s[10:11], -v[52:53]
	v_fma_f64 v[79:80], v[42:43], s[4:5], v[77:78]
	;; [unrolled: 2-line block ×5, first 2 shown]
	v_fma_f64 v[1:2], v[42:43], s[42:43], -v[1:2]
	v_add_f64 v[50:51], v[9:10], v[50:51]
	v_add_f64 v[48:49], v[9:10], v[48:49]
	;; [unrolled: 1-line block ×22, first 2 shown]
	v_fma_f64 v[7:8], v[13:14], s[40:41], v[44:45]
	v_add_f64 v[13:14], v[71:72], v[11:12]
	v_add_f64 v[11:12], v[71:72], -v[11:12]
	v_add_f64 v[103:104], v[9:10], v[103:104]
	v_add_f64 v[7:8], v[9:10], v[7:8]
	;; [unrolled: 1-line block ×3, first 2 shown]
	v_mul_f64 v[42:43], v[11:12], s[8:9]
	v_add_f64 v[17:18], v[75:76], -v[17:18]
	v_fma_f64 v[44:45], v[9:10], s[10:11], v[42:43]
	v_fma_f64 v[42:43], v[9:10], s[10:11], -v[42:43]
	v_add_f64 v[44:45], v[44:45], v[46:47]
	v_mul_f64 v[46:47], v[13:14], s[10:11]
	v_add_f64 v[31:32], v[42:43], v[31:32]
	v_fma_f64 v[71:72], v[17:18], s[12:13], v[46:47]
	v_fma_f64 v[42:43], v[17:18], s[8:9], v[46:47]
	v_mul_f64 v[46:47], v[11:12], s[26:27]
	v_add_f64 v[50:51], v[71:72], v[50:51]
	v_add_f64 v[42:43], v[42:43], v[48:49]
	v_fma_f64 v[48:49], v[9:10], s[28:29], v[46:47]
	v_fma_f64 v[46:47], v[9:10], s[28:29], -v[46:47]
	v_add_f64 v[48:49], v[48:49], v[54:55]
	v_mul_f64 v[54:55], v[13:14], s[28:29]
	v_add_f64 v[46:47], v[46:47], v[52:53]
	v_fma_f64 v[71:72], v[17:18], s[30:31], v[54:55]
	v_fma_f64 v[52:53], v[17:18], s[26:27], v[54:55]
	v_mul_f64 v[54:55], v[11:12], s[40:41]
	v_add_f64 v[60:61], v[71:72], v[60:61]
	v_add_f64 v[52:53], v[52:53], v[58:59]
	v_fma_f64 v[58:59], v[9:10], s[42:43], v[54:55]
	v_fma_f64 v[54:55], v[9:10], s[42:43], -v[54:55]
	v_mul_f64 v[71:72], v[13:14], s[42:43]
	v_add_f64 v[58:59], v[58:59], v[79:80]
	v_add_f64 v[54:55], v[54:55], v[77:78]
	v_mul_f64 v[77:78], v[11:12], s[38:39]
	v_fma_f64 v[75:76], v[17:18], s[44:45], v[71:72]
	v_fma_f64 v[71:72], v[17:18], s[40:41], v[71:72]
	v_fma_f64 v[79:80], v[9:10], s[36:37], v[77:78]
	v_fma_f64 v[77:78], v[9:10], s[36:37], -v[77:78]
	v_add_f64 v[71:72], v[71:72], v[81:82]
	v_mul_f64 v[81:82], v[13:14], s[36:37]
	v_add_f64 v[75:76], v[75:76], v[83:84]
	v_add_f64 v[79:80], v[79:80], v[87:88]
	;; [unrolled: 1-line block ×3, first 2 shown]
	v_mul_f64 v[85:86], v[11:12], s[6:7]
	v_fma_f64 v[83:84], v[17:18], s[34:35], v[81:82]
	v_fma_f64 v[81:82], v[17:18], s[38:39], v[81:82]
	v_mul_f64 v[11:12], v[11:12], s[24:25]
	v_fma_f64 v[87:88], v[9:10], s[4:5], v[85:86]
	v_fma_f64 v[85:86], v[9:10], s[4:5], -v[85:86]
	v_add_f64 v[81:82], v[81:82], v[89:90]
	v_mul_f64 v[89:90], v[13:14], s[4:5]
	v_mul_f64 v[13:14], v[13:14], s[22:23]
	v_add_f64 v[83:84], v[83:84], v[91:92]
	v_add_f64 v[87:88], v[87:88], v[95:96]
	;; [unrolled: 1-line block ×3, first 2 shown]
	v_fma_f64 v[93:94], v[9:10], s[22:23], v[11:12]
	v_fma_f64 v[9:10], v[9:10], s[22:23], -v[11:12]
	v_add_f64 v[11:12], v[66:67], v[15:16]
	v_add_f64 v[15:16], v[66:67], -v[15:16]
	v_fma_f64 v[91:92], v[17:18], s[2:3], v[89:90]
	v_fma_f64 v[89:90], v[17:18], s[6:7], v[89:90]
	;; [unrolled: 1-line block ×3, first 2 shown]
	v_add_f64 v[93:94], v[93:94], v[101:102]
	v_add_f64 v[1:2], v[9:10], v[1:2]
	v_fma_f64 v[9:10], v[17:18], s[24:25], v[13:14]
	v_mul_f64 v[17:18], v[15:16], s[2:3]
	v_add_f64 v[13:14], v[73:74], -v[21:22]
	v_add_f64 v[89:90], v[89:90], v[97:98]
	v_add_f64 v[91:92], v[91:92], v[99:100]
	;; [unrolled: 1-line block ×5, first 2 shown]
	v_mul_f64 v[73:74], v[11:12], s[22:23]
	v_fma_f64 v[21:22], v[9:10], s[4:5], v[17:18]
	v_fma_f64 v[17:18], v[9:10], s[4:5], -v[17:18]
	v_add_f64 v[21:22], v[21:22], v[44:45]
	v_mul_f64 v[44:45], v[11:12], s[4:5]
	v_add_f64 v[17:18], v[17:18], v[31:32]
	v_fma_f64 v[31:32], v[13:14], s[2:3], v[44:45]
	v_fma_f64 v[66:67], v[13:14], s[6:7], v[44:45]
	v_add_f64 v[31:32], v[31:32], v[42:43]
	v_mul_f64 v[42:43], v[15:16], s[40:41]
	v_add_f64 v[50:51], v[66:67], v[50:51]
	v_fma_f64 v[44:45], v[9:10], s[42:43], v[42:43]
	v_fma_f64 v[42:43], v[9:10], s[42:43], -v[42:43]
	v_add_f64 v[44:45], v[44:45], v[48:49]
	v_mul_f64 v[48:49], v[11:12], s[42:43]
	v_add_f64 v[42:43], v[42:43], v[46:47]
	v_fma_f64 v[66:67], v[13:14], s[44:45], v[48:49]
	v_fma_f64 v[46:47], v[13:14], s[40:41], v[48:49]
	v_mul_f64 v[48:49], v[15:16], s[30:31]
	v_add_f64 v[60:61], v[66:67], v[60:61]
	v_add_f64 v[46:47], v[46:47], v[52:53]
	v_fma_f64 v[52:53], v[9:10], s[28:29], v[48:49]
	v_fma_f64 v[48:49], v[9:10], s[28:29], -v[48:49]
	v_add_f64 v[52:53], v[52:53], v[58:59]
	v_mul_f64 v[58:59], v[11:12], s[28:29]
	v_add_f64 v[48:49], v[48:49], v[54:55]
	v_fma_f64 v[66:67], v[13:14], s[26:27], v[58:59]
	v_fma_f64 v[54:55], v[13:14], s[30:31], v[58:59]
	v_mul_f64 v[58:59], v[15:16], s[24:25]
	v_add_f64 v[66:67], v[66:67], v[75:76]
	v_add_f64 v[54:55], v[54:55], v[71:72]
	v_fma_f64 v[71:72], v[9:10], s[22:23], v[58:59]
	v_fma_f64 v[58:59], v[9:10], s[22:23], -v[58:59]
	v_fma_f64 v[75:76], v[13:14], s[14:15], v[73:74]
	v_fma_f64 v[73:74], v[13:14], s[24:25], v[73:74]
	v_add_f64 v[71:72], v[71:72], v[79:80]
	v_add_f64 v[58:59], v[58:59], v[77:78]
	v_mul_f64 v[77:78], v[15:16], s[8:9]
	v_mul_f64 v[15:16], v[15:16], s[34:35]
	v_add_f64 v[73:74], v[73:74], v[81:82]
	v_mul_f64 v[81:82], v[11:12], s[10:11]
	v_mul_f64 v[11:12], v[11:12], s[36:37]
	v_add_f64 v[75:76], v[75:76], v[83:84]
	v_fma_f64 v[79:80], v[9:10], s[10:11], v[77:78]
	v_fma_f64 v[77:78], v[9:10], s[10:11], -v[77:78]
	v_fma_f64 v[83:84], v[13:14], s[12:13], v[81:82]
	v_fma_f64 v[81:82], v[13:14], s[8:9], v[81:82]
	v_add_f64 v[79:80], v[79:80], v[87:88]
	v_add_f64 v[77:78], v[77:78], v[85:86]
	v_fma_f64 v[85:86], v[9:10], s[36:37], v[15:16]
	v_fma_f64 v[9:10], v[9:10], s[36:37], -v[15:16]
	v_add_f64 v[15:16], v[62:63], -v[19:20]
	v_fma_f64 v[87:88], v[13:14], s[38:39], v[11:12]
	v_add_f64 v[81:82], v[81:82], v[89:90]
	v_add_f64 v[83:84], v[83:84], v[91:92]
	;; [unrolled: 1-line block ×4, first 2 shown]
	v_fma_f64 v[9:10], v[13:14], s[34:35], v[11:12]
	v_add_f64 v[11:12], v[62:63], v[19:20]
	v_mul_f64 v[19:20], v[15:16], s[26:27]
	v_add_f64 v[13:14], v[68:69], -v[40:41]
	v_add_f64 v[87:88], v[87:88], v[95:96]
	v_add_f64 v[7:8], v[9:10], v[7:8]
	;; [unrolled: 1-line block ×3, first 2 shown]
	v_fma_f64 v[40:41], v[9:10], s[28:29], v[19:20]
	v_fma_f64 v[19:20], v[9:10], s[28:29], -v[19:20]
	v_add_f64 v[21:22], v[40:41], v[21:22]
	v_mul_f64 v[40:41], v[11:12], s[28:29]
	v_add_f64 v[17:18], v[19:20], v[17:18]
	v_fma_f64 v[19:20], v[13:14], s[26:27], v[40:41]
	v_fma_f64 v[62:63], v[13:14], s[30:31], v[40:41]
	v_add_f64 v[19:20], v[19:20], v[31:32]
	v_mul_f64 v[31:32], v[15:16], s[38:39]
	v_add_f64 v[50:51], v[62:63], v[50:51]
	v_fma_f64 v[40:41], v[9:10], s[36:37], v[31:32]
	v_fma_f64 v[31:32], v[9:10], s[36:37], -v[31:32]
	v_add_f64 v[40:41], v[40:41], v[44:45]
	v_mul_f64 v[44:45], v[11:12], s[36:37]
	v_add_f64 v[31:32], v[31:32], v[42:43]
	v_fma_f64 v[62:63], v[13:14], s[34:35], v[44:45]
	v_fma_f64 v[42:43], v[13:14], s[38:39], v[44:45]
	v_mul_f64 v[44:45], v[15:16], s[24:25]
	v_add_f64 v[60:61], v[62:63], v[60:61]
	v_add_f64 v[42:43], v[42:43], v[46:47]
	v_fma_f64 v[46:47], v[9:10], s[22:23], v[44:45]
	v_fma_f64 v[44:45], v[9:10], s[22:23], -v[44:45]
	v_add_f64 v[46:47], v[46:47], v[52:53]
	v_mul_f64 v[52:53], v[11:12], s[22:23]
	v_add_f64 v[44:45], v[44:45], v[48:49]
	v_fma_f64 v[62:63], v[13:14], s[14:15], v[52:53]
	v_fma_f64 v[48:49], v[13:14], s[24:25], v[52:53]
	v_mul_f64 v[52:53], v[15:16], s[2:3]
	v_add_f64 v[62:63], v[62:63], v[66:67]
	v_add_f64 v[48:49], v[48:49], v[54:55]
	v_fma_f64 v[54:55], v[9:10], s[4:5], v[52:53]
	v_mul_f64 v[66:67], v[11:12], s[4:5]
	v_fma_f64 v[52:53], v[9:10], s[4:5], -v[52:53]
	v_add_f64 v[54:55], v[54:55], v[71:72]
	v_fma_f64 v[68:69], v[13:14], s[6:7], v[66:67]
	v_add_f64 v[52:53], v[52:53], v[58:59]
	v_fma_f64 v[58:59], v[13:14], s[2:3], v[66:67]
	v_mul_f64 v[66:67], v[15:16], s[44:45]
	v_mul_f64 v[15:16], v[15:16], s[12:13]
	v_add_f64 v[68:69], v[68:69], v[75:76]
	v_add_f64 v[58:59], v[58:59], v[73:74]
	v_fma_f64 v[71:72], v[9:10], s[42:43], v[66:67]
	v_fma_f64 v[66:67], v[9:10], s[42:43], -v[66:67]
	v_mul_f64 v[73:74], v[11:12], s[42:43]
	v_mul_f64 v[11:12], v[11:12], s[10:11]
	v_add_f64 v[71:72], v[71:72], v[79:80]
	v_add_f64 v[66:67], v[66:67], v[77:78]
	v_fma_f64 v[77:78], v[9:10], s[10:11], v[15:16]
	v_fma_f64 v[9:10], v[9:10], s[10:11], -v[15:16]
	v_add_f64 v[15:16], v[23:24], -v[38:39]
	v_fma_f64 v[79:80], v[13:14], s[8:9], v[11:12]
	v_fma_f64 v[75:76], v[13:14], s[40:41], v[73:74]
	;; [unrolled: 1-line block ×3, first 2 shown]
	v_add_f64 v[77:78], v[77:78], v[85:86]
	v_add_f64 v[1:2], v[9:10], v[1:2]
	v_fma_f64 v[9:10], v[13:14], s[12:13], v[11:12]
	v_add_f64 v[11:12], v[23:24], v[38:39]
	v_mul_f64 v[23:24], v[15:16], s[34:35]
	v_add_f64 v[13:14], v[64:65], -v[36:37]
	v_add_f64 v[73:74], v[73:74], v[81:82]
	v_add_f64 v[85:86], v[27:28], v[34:35]
	v_add_f64 v[27:28], v[27:28], -v[34:35]
	v_add_f64 v[75:76], v[75:76], v[83:84]
	v_add_f64 v[83:84], v[25:26], v[29:30]
	;; [unrolled: 1-line block ×3, first 2 shown]
	v_add_f64 v[87:88], v[25:26], -v[29:30]
	v_mul_lo_u32 v34, v57, v33
	v_add_f64 v[7:8], v[9:10], v[7:8]
	v_add_f64 v[9:10], v[64:65], v[36:37]
	v_mul_f64 v[25:26], v[85:86], s[10:11]
	v_mul_f64 v[29:30], v[27:28], s[26:27]
	v_fma_f64 v[36:37], v[9:10], s[36:37], v[23:24]
	v_fma_f64 v[23:24], v[9:10], s[36:37], -v[23:24]
	v_add_f64 v[21:22], v[36:37], v[21:22]
	v_mul_f64 v[36:37], v[11:12], s[36:37]
	v_add_f64 v[17:18], v[23:24], v[17:18]
	v_fma_f64 v[23:24], v[13:14], s[34:35], v[36:37]
	v_fma_f64 v[38:39], v[13:14], s[38:39], v[36:37]
	v_add_f64 v[19:20], v[23:24], v[19:20]
	v_mul_f64 v[23:24], v[15:16], s[6:7]
	v_add_f64 v[38:39], v[38:39], v[50:51]
	v_fma_f64 v[36:37], v[9:10], s[4:5], v[23:24]
	v_fma_f64 v[23:24], v[9:10], s[4:5], -v[23:24]
	v_add_f64 v[36:37], v[36:37], v[40:41]
	v_mul_f64 v[40:41], v[11:12], s[4:5]
	v_add_f64 v[23:24], v[23:24], v[31:32]
	v_fma_f64 v[50:51], v[13:14], s[2:3], v[40:41]
	v_fma_f64 v[31:32], v[13:14], s[6:7], v[40:41]
	v_mul_f64 v[40:41], v[15:16], s[8:9]
	v_add_f64 v[60:61], v[50:51], v[60:61]
	v_add_f64 v[31:32], v[31:32], v[42:43]
	v_fma_f64 v[42:43], v[9:10], s[10:11], v[40:41]
	v_fma_f64 v[40:41], v[9:10], s[10:11], -v[40:41]
	v_add_f64 v[42:43], v[42:43], v[46:47]
	v_mul_f64 v[46:47], v[11:12], s[10:11]
	v_add_f64 v[40:41], v[40:41], v[44:45]
	v_fma_f64 v[44:45], v[13:14], s[8:9], v[46:47]
	v_fma_f64 v[50:51], v[13:14], s[12:13], v[46:47]
	v_add_f64 v[45:46], v[44:45], v[48:49]
	v_mul_f64 v[47:48], v[15:16], s[44:45]
	v_add_f64 v[62:63], v[50:51], v[62:63]
	v_fma_f64 v[49:50], v[9:10], s[42:43], v[47:48]
	v_fma_f64 v[47:48], v[9:10], s[42:43], -v[47:48]
	v_add_f64 v[55:56], v[49:50], v[54:55]
	v_mul_f64 v[49:50], v[11:12], s[42:43]
	v_fma_f64 v[64:65], v[13:14], s[40:41], v[49:50]
	v_add_f64 v[64:65], v[64:65], v[68:69]
	v_add_f64 v[68:69], v[47:48], v[52:53]
	v_fma_f64 v[47:48], v[13:14], s[44:45], v[49:50]
	v_add_f64 v[58:59], v[47:48], v[58:59]
	v_mul_f64 v[47:48], v[15:16], s[24:25]
	v_mul_f64 v[15:16], v[15:16], s[26:27]
	v_fma_f64 v[49:50], v[9:10], s[22:23], v[47:48]
	v_fma_f64 v[47:48], v[9:10], s[22:23], -v[47:48]
	v_add_f64 v[71:72], v[49:50], v[71:72]
	v_mul_f64 v[49:50], v[11:12], s[22:23]
	v_add_f64 v[66:67], v[47:48], v[66:67]
	v_mul_f64 v[11:12], v[11:12], s[28:29]
	v_fma_f64 v[47:48], v[13:14], s[24:25], v[49:50]
	v_fma_f64 v[51:52], v[13:14], s[14:15], v[49:50]
	v_add_f64 v[73:74], v[47:48], v[73:74]
	v_fma_f64 v[47:48], v[9:10], s[28:29], v[15:16]
	v_fma_f64 v[9:10], v[9:10], s[28:29], -v[15:16]
	v_add_f64 v[75:76], v[51:52], v[75:76]
	v_mul_f64 v[15:16], v[27:28], s[24:25]
	v_add_f64 v[77:78], v[47:48], v[77:78]
	v_fma_f64 v[47:48], v[13:14], s[30:31], v[11:12]
	v_add_f64 v[1:2], v[9:10], v[1:2]
	v_fma_f64 v[9:10], v[13:14], s[26:27], v[11:12]
	v_mul_f64 v[11:12], v[27:28], s[40:41]
	v_mul_f64 v[13:14], v[85:86], s[42:43]
	v_add_f64 v[79:80], v[47:48], v[79:80]
	v_add_f64 v[81:82], v[9:10], v[7:8]
	v_fma_f64 v[7:8], v[83:84], s[42:43], v[11:12]
	v_fma_f64 v[11:12], v[83:84], s[42:43], -v[11:12]
	v_fma_f64 v[9:10], v[87:88], s[44:45], v[13:14]
	v_add_f64 v[7:8], v[7:8], v[21:22]
	v_add_f64 v[51:52], v[11:12], v[17:18]
	v_fma_f64 v[11:12], v[87:88], s[40:41], v[13:14]
	v_mul_f64 v[17:18], v[85:86], s[22:23]
	v_mul_f64 v[21:22], v[85:86], s[36:37]
	v_add_f64 v[9:10], v[9:10], v[38:39]
	v_add_f64 v[49:50], v[11:12], v[19:20]
	v_fma_f64 v[11:12], v[83:84], s[22:23], v[15:16]
	v_fma_f64 v[15:16], v[83:84], s[22:23], -v[15:16]
	v_mul_f64 v[19:20], v[27:28], s[34:35]
	v_fma_f64 v[13:14], v[87:88], s[14:15], v[17:18]
	v_add_f64 v[11:12], v[11:12], v[36:37]
	v_add_f64 v[47:48], v[15:16], v[23:24]
	v_fma_f64 v[15:16], v[87:88], s[24:25], v[17:18]
	v_mul_f64 v[23:24], v[27:28], s[12:13]
	v_fma_f64 v[17:18], v[87:88], s[38:39], v[21:22]
	v_add_f64 v[13:14], v[13:14], v[60:61]
	v_add_f64 v[53:54], v[15:16], v[31:32]
	v_fma_f64 v[15:16], v[83:84], s[36:37], v[19:20]
	v_fma_f64 v[19:20], v[83:84], s[36:37], -v[19:20]
	v_mul_f64 v[31:32], v[85:86], s[28:29]
	v_add_f64 v[17:18], v[17:18], v[62:63]
	v_add_f64 v[15:16], v[15:16], v[42:43]
	;; [unrolled: 1-line block ×3, first 2 shown]
	v_fma_f64 v[19:20], v[87:88], s[34:35], v[21:22]
	v_fma_f64 v[21:22], v[87:88], s[8:9], v[25:26]
	v_add_f64 v[45:46], v[19:20], v[45:46]
	v_fma_f64 v[19:20], v[83:84], s[10:11], v[23:24]
	v_fma_f64 v[23:24], v[83:84], s[10:11], -v[23:24]
	v_add_f64 v[21:22], v[21:22], v[64:65]
	v_add_f64 v[19:20], v[19:20], v[55:56]
	;; [unrolled: 1-line block ×3, first 2 shown]
	v_fma_f64 v[23:24], v[87:88], s[12:13], v[25:26]
	v_fma_f64 v[25:26], v[87:88], s[30:31], v[31:32]
	v_mul_f64 v[55:56], v[85:86], s[4:5]
	v_add_f64 v[41:42], v[23:24], v[58:59]
	v_fma_f64 v[23:24], v[83:84], s[28:29], v[29:30]
	v_fma_f64 v[29:30], v[83:84], s[28:29], -v[29:30]
	v_add_f64 v[25:26], v[25:26], v[75:76]
	v_add_f64 v[23:24], v[23:24], v[71:72]
	;; [unrolled: 1-line block ×3, first 2 shown]
	v_fma_f64 v[29:30], v[87:88], s[26:27], v[31:32]
	v_mul_f64 v[31:32], v[27:28], s[6:7]
	v_add_f64 v[37:38], v[29:30], v[73:74]
	v_fma_f64 v[27:28], v[83:84], s[4:5], v[31:32]
	v_fma_f64 v[31:32], v[83:84], s[4:5], -v[31:32]
	v_fma_f64 v[29:30], v[87:88], s[2:3], v[55:56]
	s_add_i32 s2, 0, 0x7ec0
	v_add_f64 v[27:28], v[27:28], v[77:78]
	v_add_f64 v[31:32], v[31:32], v[1:2]
	v_fma_f64 v[1:2], v[87:88], s[6:7], v[55:56]
	v_add_f64 v[29:30], v[29:30], v[79:80]
	v_add_f64 v[55:56], v[1:2], v[81:82]
	v_and_b32_e32 v1, 63, v34
	v_lshl_add_u32 v1, v1, 4, 0
	ds_read_b128 v[58:61], v1 offset:32448
	v_lshrrev_b32_e32 v1, 2, v34
	v_and_b32_e32 v1, 0x3f0, v1
	v_add_nc_u32_e32 v1, s2, v1
	ds_read_b128 v[62:65], v1 offset:1024
	s_waitcnt lgkmcnt(0)
	v_mul_f64 v[1:2], v[60:61], v[64:65]
	v_fma_f64 v[1:2], v[58:59], v[62:63], -v[1:2]
	v_mul_f64 v[58:59], v[58:59], v[64:65]
	v_fma_f64 v[62:63], v[60:61], v[62:63], v[58:59]
	v_lshrrev_b32_e32 v58, 8, v34
	v_and_b32_e32 v58, 0x3f0, v58
	v_add_nc_u32_e32 v58, s2, v58
	ds_read_b128 v[58:61], v58 offset:2048
	s_waitcnt lgkmcnt(0)
	v_mul_f64 v[64:65], v[62:63], v[60:61]
	v_fma_f64 v[64:65], v[58:59], v[1:2], -v[64:65]
	v_mul_f64 v[1:2], v[1:2], v[60:61]
	v_fma_f64 v[58:59], v[58:59], v[62:63], v[1:2]
	v_mul_f64 v[1:2], v[5:6], v[58:59]
	v_fma_f64 v[1:2], v[3:4], v[64:65], v[1:2]
	v_mul_f64 v[3:4], v[3:4], v[58:59]
	v_mul_lo_u32 v58, v33, 13
	v_add_nc_u32_e32 v67, v34, v58
	v_fma_f64 v[3:4], v[5:6], v[64:65], -v[3:4]
	v_and_b32_e32 v5, 63, v67
	v_lshl_add_u32 v5, v5, 4, 0
	ds_read_b128 v[59:62], v5 offset:32448
	v_lshrrev_b32_e32 v5, 2, v67
	v_and_b32_e32 v5, 0x3f0, v5
	v_add_nc_u32_e32 v5, s2, v5
	ds_read_b128 v[63:66], v5 offset:1024
	s_waitcnt lgkmcnt(0)
	v_mul_f64 v[5:6], v[61:62], v[65:66]
	v_mul_f64 v[33:34], v[59:60], v[65:66]
	v_fma_f64 v[5:6], v[59:60], v[63:64], -v[5:6]
	v_lshrrev_b32_e32 v59, 8, v67
	v_fma_f64 v[33:34], v[61:62], v[63:64], v[33:34]
	v_add_nc_u32_e32 v67, v67, v58
	v_and_b32_e32 v59, 0x3f0, v59
	v_add_nc_u32_e32 v59, s2, v59
	ds_read_b128 v[59:62], v59 offset:2048
	s_waitcnt lgkmcnt(0)
	v_mul_f64 v[63:64], v[33:34], v[61:62]
	v_fma_f64 v[63:64], v[59:60], v[5:6], -v[63:64]
	v_mul_f64 v[5:6], v[5:6], v[61:62]
	v_fma_f64 v[33:34], v[59:60], v[33:34], v[5:6]
	v_mul_f64 v[5:6], v[9:10], v[33:34]
	v_fma_f64 v[5:6], v[7:8], v[63:64], v[5:6]
	v_mul_f64 v[7:8], v[7:8], v[33:34]
	v_fma_f64 v[7:8], v[9:10], v[63:64], -v[7:8]
	v_and_b32_e32 v9, 63, v67
	v_lshl_add_u32 v9, v9, 4, 0
	ds_read_b128 v[59:62], v9 offset:32448
	v_lshrrev_b32_e32 v9, 2, v67
	v_and_b32_e32 v9, 0x3f0, v9
	v_add_nc_u32_e32 v9, s2, v9
	ds_read_b128 v[63:66], v9 offset:1024
	s_waitcnt lgkmcnt(0)
	v_mul_f64 v[9:10], v[61:62], v[65:66]
	v_mul_f64 v[33:34], v[59:60], v[65:66]
	v_fma_f64 v[9:10], v[59:60], v[63:64], -v[9:10]
	v_lshrrev_b32_e32 v59, 8, v67
	v_fma_f64 v[33:34], v[61:62], v[63:64], v[33:34]
	v_add_nc_u32_e32 v67, v67, v58
	v_and_b32_e32 v59, 0x3f0, v59
	v_add_nc_u32_e32 v59, s2, v59
	ds_read_b128 v[59:62], v59 offset:2048
	s_waitcnt lgkmcnt(0)
	v_mul_f64 v[63:64], v[33:34], v[61:62]
	v_fma_f64 v[63:64], v[59:60], v[9:10], -v[63:64]
	v_mul_f64 v[9:10], v[9:10], v[61:62]
	v_fma_f64 v[33:34], v[59:60], v[33:34], v[9:10]
	v_mul_f64 v[9:10], v[13:14], v[33:34]
	v_fma_f64 v[9:10], v[11:12], v[63:64], v[9:10]
	v_mul_f64 v[11:12], v[11:12], v[33:34]
	;; [unrolled: 26-line block ×7, first 2 shown]
	v_and_b32_e32 v33, 63, v67
	v_lshl_add_u32 v33, v33, 4, 0
	ds_read_b128 v[59:62], v33 offset:32448
	v_lshrrev_b32_e32 v33, 2, v67
	v_and_b32_e32 v33, 0x3f0, v33
	v_add_nc_u32_e32 v33, s2, v33
	v_fma_f64 v[31:32], v[55:56], v[63:64], -v[31:32]
	ds_read_b128 v[63:66], v33 offset:1024
	s_waitcnt lgkmcnt(0)
	v_mul_f64 v[33:34], v[61:62], v[65:66]
	v_mul_f64 v[55:56], v[59:60], v[65:66]
	v_fma_f64 v[33:34], v[59:60], v[63:64], -v[33:34]
	v_lshrrev_b32_e32 v59, 8, v67
	v_fma_f64 v[55:56], v[61:62], v[63:64], v[55:56]
	v_add_nc_u32_e32 v67, v67, v58
	v_and_b32_e32 v59, 0x3f0, v59
	v_add_nc_u32_e32 v59, s2, v59
	ds_read_b128 v[59:62], v59 offset:2048
	s_waitcnt lgkmcnt(0)
	v_mul_f64 v[63:64], v[55:56], v[61:62]
	v_fma_f64 v[63:64], v[59:60], v[33:34], -v[63:64]
	v_mul_f64 v[33:34], v[33:34], v[61:62]
	v_fma_f64 v[55:56], v[59:60], v[55:56], v[33:34]
	v_mul_f64 v[33:34], v[37:38], v[55:56]
	v_fma_f64 v[33:34], v[35:36], v[63:64], v[33:34]
	v_mul_f64 v[35:36], v[35:36], v[55:56]
	v_fma_f64 v[35:36], v[37:38], v[63:64], -v[35:36]
	v_and_b32_e32 v37, 63, v67
	v_lshl_add_u32 v37, v37, 4, 0
	ds_read_b128 v[59:62], v37 offset:32448
	v_lshrrev_b32_e32 v37, 2, v67
	v_and_b32_e32 v37, 0x3f0, v37
	v_add_nc_u32_e32 v37, s2, v37
	ds_read_b128 v[63:66], v37 offset:1024
	s_waitcnt lgkmcnt(0)
	v_mul_f64 v[37:38], v[61:62], v[65:66]
	v_mul_f64 v[55:56], v[59:60], v[65:66]
	v_fma_f64 v[37:38], v[59:60], v[63:64], -v[37:38]
	v_lshrrev_b32_e32 v59, 8, v67
	v_fma_f64 v[55:56], v[61:62], v[63:64], v[55:56]
	v_add_nc_u32_e32 v67, v67, v58
	v_and_b32_e32 v59, 0x3f0, v59
	v_add_nc_u32_e32 v59, s2, v59
	ds_read_b128 v[59:62], v59 offset:2048
	s_waitcnt lgkmcnt(0)
	v_mul_f64 v[63:64], v[55:56], v[61:62]
	v_fma_f64 v[63:64], v[59:60], v[37:38], -v[63:64]
	v_mul_f64 v[37:38], v[37:38], v[61:62]
	v_fma_f64 v[55:56], v[59:60], v[55:56], v[37:38]
	v_mul_f64 v[37:38], v[41:42], v[55:56]
	v_fma_f64 v[37:38], v[39:40], v[63:64], v[37:38]
	v_mul_f64 v[39:40], v[39:40], v[55:56]
	v_fma_f64 v[39:40], v[41:42], v[63:64], -v[39:40]
	v_and_b32_e32 v41, 63, v67
	v_lshl_add_u32 v41, v41, 4, 0
	ds_read_b128 v[59:62], v41 offset:32448
	v_lshrrev_b32_e32 v41, 2, v67
	v_and_b32_e32 v41, 0x3f0, v41
	v_add_nc_u32_e32 v41, s2, v41
	ds_read_b128 v[63:66], v41 offset:1024
	s_waitcnt lgkmcnt(0)
	v_mul_f64 v[41:42], v[61:62], v[65:66]
	v_mul_f64 v[55:56], v[59:60], v[65:66]
	v_fma_f64 v[41:42], v[59:60], v[63:64], -v[41:42]
	v_lshrrev_b32_e32 v59, 8, v67
	v_fma_f64 v[55:56], v[61:62], v[63:64], v[55:56]
	v_add_nc_u32_e32 v67, v67, v58
	v_and_b32_e32 v59, 0x3f0, v59
	v_add_nc_u32_e32 v58, v67, v58
	v_add_nc_u32_e32 v59, s2, v59
	ds_read_b128 v[59:62], v59 offset:2048
	s_waitcnt lgkmcnt(0)
	v_mul_f64 v[63:64], v[55:56], v[61:62]
	v_fma_f64 v[63:64], v[59:60], v[41:42], -v[63:64]
	v_mul_f64 v[41:42], v[41:42], v[61:62]
	v_fma_f64 v[55:56], v[59:60], v[55:56], v[41:42]
	v_mul_f64 v[41:42], v[45:46], v[55:56]
	v_fma_f64 v[41:42], v[43:44], v[63:64], v[41:42]
	v_mul_f64 v[43:44], v[43:44], v[55:56]
	v_fma_f64 v[43:44], v[45:46], v[63:64], -v[43:44]
	v_and_b32_e32 v45, 63, v67
	v_lshl_add_u32 v45, v45, 4, 0
	ds_read_b128 v[59:62], v45 offset:32448
	v_lshrrev_b32_e32 v45, 2, v67
	v_and_b32_e32 v45, 0x3f0, v45
	v_add_nc_u32_e32 v45, s2, v45
	ds_read_b128 v[63:66], v45 offset:1024
	s_waitcnt lgkmcnt(0)
	v_mul_f64 v[45:46], v[61:62], v[65:66]
	v_mul_f64 v[55:56], v[59:60], v[65:66]
	v_fma_f64 v[45:46], v[59:60], v[63:64], -v[45:46]
	v_lshrrev_b32_e32 v59, 8, v67
	v_fma_f64 v[55:56], v[61:62], v[63:64], v[55:56]
	v_and_b32_e32 v59, 0x3f0, v59
	v_add_nc_u32_e32 v59, s2, v59
	ds_read_b128 v[59:62], v59 offset:2048
	s_waitcnt lgkmcnt(0)
	v_mul_f64 v[63:64], v[55:56], v[61:62]
	v_fma_f64 v[63:64], v[59:60], v[45:46], -v[63:64]
	v_mul_f64 v[45:46], v[45:46], v[61:62]
	v_fma_f64 v[55:56], v[59:60], v[55:56], v[45:46]
	v_mul_f64 v[45:46], v[53:54], v[55:56]
	v_fma_f64 v[45:46], v[47:48], v[63:64], v[45:46]
	v_mul_f64 v[47:48], v[47:48], v[55:56]
	v_fma_f64 v[47:48], v[53:54], v[63:64], -v[47:48]
	v_and_b32_e32 v53, 63, v58
	v_lshl_add_u32 v53, v53, 4, 0
	ds_read_b128 v[59:62], v53 offset:32448
	v_lshrrev_b32_e32 v53, 2, v58
	v_lshrrev_b32_e32 v58, 8, v58
	v_and_b32_e32 v53, 0x3f0, v53
	v_and_b32_e32 v58, 0x3f0, v58
	v_add_nc_u32_e32 v53, s2, v53
	v_add_nc_u32_e32 v58, s2, v58
	ds_read_b128 v[63:66], v53 offset:1024
	s_waitcnt lgkmcnt(0)
	v_mul_f64 v[55:56], v[59:60], v[65:66]
	v_mul_f64 v[53:54], v[61:62], v[65:66]
	v_fma_f64 v[55:56], v[61:62], v[63:64], v[55:56]
	v_fma_f64 v[53:54], v[59:60], v[63:64], -v[53:54]
	ds_read_b128 v[58:61], v58 offset:2048
	s_waitcnt lgkmcnt(0)
	v_mul_f64 v[62:63], v[55:56], v[60:61]
	v_fma_f64 v[62:63], v[58:59], v[53:54], -v[62:63]
	v_mul_f64 v[53:54], v[53:54], v[60:61]
	v_fma_f64 v[55:56], v[58:59], v[55:56], v[53:54]
	v_mul_f64 v[53:54], v[49:50], v[55:56]
	v_fma_f64 v[53:54], v[51:52], v[62:63], v[53:54]
	v_mul_f64 v[51:52], v[51:52], v[55:56]
	v_fma_f64 v[55:56], v[49:50], v[62:63], -v[51:52]
	v_mul_lo_u32 v49, s0, v0
	v_add_lshl_u32 v49, v70, v49, 4
	v_cndmask_b32_e32 v49, -1, v49, vcc_lo
	buffer_store_dwordx4 v[1:4], v49, s[16:19], s1 offen
	v_add_nc_u32_e32 v1, 13, v0
	v_mul_lo_u32 v1, s0, v1
	v_add_lshl_u32 v1, v70, v1, 4
	v_cndmask_b32_e32 v1, -1, v1, vcc_lo
	buffer_store_dwordx4 v[5:8], v1, s[16:19], s1 offen
	v_add_nc_u32_e32 v1, 26, v0
	;; [unrolled: 5-line block ×11, first 2 shown]
	v_add_nc_u32_e32 v0, 0x9c, v0
	v_mul_lo_u32 v1, s0, v1
	v_mul_lo_u32 v0, s0, v0
	v_add_lshl_u32 v1, v70, v1, 4
	v_add_lshl_u32 v0, v70, v0, 4
	v_cndmask_b32_e32 v1, -1, v1, vcc_lo
	v_cndmask_b32_e32 v0, -1, v0, vcc_lo
	buffer_store_dwordx4 v[45:48], v1, s[16:19], s1 offen
	buffer_store_dwordx4 v[53:56], v0, s[16:19], s1 offen
	s_endpgm
	.section	.rodata,"a",@progbits
	.p2align	6, 0x0
	.amdhsa_kernel fft_rtc_back_len169_factors_13_13_wgs_156_tpt_13_dp_ip_CI_sbcc_twdbase6_3step_dirReg_intrinsicReadWrite
		.amdhsa_group_segment_fixed_size 0
		.amdhsa_private_segment_fixed_size 0
		.amdhsa_kernarg_size 96
		.amdhsa_user_sgpr_count 6
		.amdhsa_user_sgpr_private_segment_buffer 1
		.amdhsa_user_sgpr_dispatch_ptr 0
		.amdhsa_user_sgpr_queue_ptr 0
		.amdhsa_user_sgpr_kernarg_segment_ptr 1
		.amdhsa_user_sgpr_dispatch_id 0
		.amdhsa_user_sgpr_flat_scratch_init 0
		.amdhsa_user_sgpr_private_segment_size 0
		.amdhsa_wavefront_size32 1
		.amdhsa_uses_dynamic_stack 0
		.amdhsa_system_sgpr_private_segment_wavefront_offset 0
		.amdhsa_system_sgpr_workgroup_id_x 1
		.amdhsa_system_sgpr_workgroup_id_y 0
		.amdhsa_system_sgpr_workgroup_id_z 0
		.amdhsa_system_sgpr_workgroup_info 0
		.amdhsa_system_vgpr_workitem_id 0
		.amdhsa_next_free_vgpr 105
		.amdhsa_next_free_sgpr 46
		.amdhsa_reserve_vcc 1
		.amdhsa_reserve_flat_scratch 0
		.amdhsa_float_round_mode_32 0
		.amdhsa_float_round_mode_16_64 0
		.amdhsa_float_denorm_mode_32 3
		.amdhsa_float_denorm_mode_16_64 3
		.amdhsa_dx10_clamp 1
		.amdhsa_ieee_mode 1
		.amdhsa_fp16_overflow 0
		.amdhsa_workgroup_processor_mode 1
		.amdhsa_memory_ordered 1
		.amdhsa_forward_progress 0
		.amdhsa_shared_vgpr_count 0
		.amdhsa_exception_fp_ieee_invalid_op 0
		.amdhsa_exception_fp_denorm_src 0
		.amdhsa_exception_fp_ieee_div_zero 0
		.amdhsa_exception_fp_ieee_overflow 0
		.amdhsa_exception_fp_ieee_underflow 0
		.amdhsa_exception_fp_ieee_inexact 0
		.amdhsa_exception_int_div_zero 0
	.end_amdhsa_kernel
	.text
.Lfunc_end0:
	.size	fft_rtc_back_len169_factors_13_13_wgs_156_tpt_13_dp_ip_CI_sbcc_twdbase6_3step_dirReg_intrinsicReadWrite, .Lfunc_end0-fft_rtc_back_len169_factors_13_13_wgs_156_tpt_13_dp_ip_CI_sbcc_twdbase6_3step_dirReg_intrinsicReadWrite
                                        ; -- End function
	.section	.AMDGPU.csdata,"",@progbits
; Kernel info:
; codeLenInByte = 12668
; NumSgprs: 48
; NumVgprs: 105
; ScratchSize: 0
; MemoryBound: 0
; FloatMode: 240
; IeeeMode: 1
; LDSByteSize: 0 bytes/workgroup (compile time only)
; SGPRBlocks: 5
; VGPRBlocks: 13
; NumSGPRsForWavesPerEU: 48
; NumVGPRsForWavesPerEU: 105
; Occupancy: 9
; WaveLimiterHint : 0
; COMPUTE_PGM_RSRC2:SCRATCH_EN: 0
; COMPUTE_PGM_RSRC2:USER_SGPR: 6
; COMPUTE_PGM_RSRC2:TRAP_HANDLER: 0
; COMPUTE_PGM_RSRC2:TGID_X_EN: 1
; COMPUTE_PGM_RSRC2:TGID_Y_EN: 0
; COMPUTE_PGM_RSRC2:TGID_Z_EN: 0
; COMPUTE_PGM_RSRC2:TIDIG_COMP_CNT: 0
	.text
	.p2alignl 6, 3214868480
	.fill 48, 4, 3214868480
	.type	__hip_cuid_8cc1bf4893a55a59,@object ; @__hip_cuid_8cc1bf4893a55a59
	.section	.bss,"aw",@nobits
	.globl	__hip_cuid_8cc1bf4893a55a59
__hip_cuid_8cc1bf4893a55a59:
	.byte	0                               ; 0x0
	.size	__hip_cuid_8cc1bf4893a55a59, 1

	.ident	"AMD clang version 19.0.0git (https://github.com/RadeonOpenCompute/llvm-project roc-6.4.0 25133 c7fe45cf4b819c5991fe208aaa96edf142730f1d)"
	.section	".note.GNU-stack","",@progbits
	.addrsig
	.addrsig_sym __hip_cuid_8cc1bf4893a55a59
	.amdgpu_metadata
---
amdhsa.kernels:
  - .args:
      - .actual_access:  read_only
        .address_space:  global
        .offset:         0
        .size:           8
        .value_kind:     global_buffer
      - .address_space:  global
        .offset:         8
        .size:           8
        .value_kind:     global_buffer
      - .offset:         16
        .size:           8
        .value_kind:     by_value
      - .actual_access:  read_only
        .address_space:  global
        .offset:         24
        .size:           8
        .value_kind:     global_buffer
      - .actual_access:  read_only
        .address_space:  global
        .offset:         32
        .size:           8
        .value_kind:     global_buffer
      - .offset:         40
        .size:           8
        .value_kind:     by_value
      - .actual_access:  read_only
        .address_space:  global
        .offset:         48
        .size:           8
        .value_kind:     global_buffer
      - .actual_access:  read_only
        .address_space:  global
        .offset:         56
        .size:           8
        .value_kind:     global_buffer
      - .offset:         64
        .size:           4
        .value_kind:     by_value
      - .actual_access:  read_only
        .address_space:  global
        .offset:         72
        .size:           8
        .value_kind:     global_buffer
      - .actual_access:  read_only
        .address_space:  global
        .offset:         80
        .size:           8
        .value_kind:     global_buffer
      - .address_space:  global
        .offset:         88
        .size:           8
        .value_kind:     global_buffer
    .group_segment_fixed_size: 0
    .kernarg_segment_align: 8
    .kernarg_segment_size: 96
    .language:       OpenCL C
    .language_version:
      - 2
      - 0
    .max_flat_workgroup_size: 156
    .name:           fft_rtc_back_len169_factors_13_13_wgs_156_tpt_13_dp_ip_CI_sbcc_twdbase6_3step_dirReg_intrinsicReadWrite
    .private_segment_fixed_size: 0
    .sgpr_count:     48
    .sgpr_spill_count: 0
    .symbol:         fft_rtc_back_len169_factors_13_13_wgs_156_tpt_13_dp_ip_CI_sbcc_twdbase6_3step_dirReg_intrinsicReadWrite.kd
    .uniform_work_group_size: 1
    .uses_dynamic_stack: false
    .vgpr_count:     105
    .vgpr_spill_count: 0
    .wavefront_size: 32
    .workgroup_processor_mode: 1
amdhsa.target:   amdgcn-amd-amdhsa--gfx1030
amdhsa.version:
  - 1
  - 2
...

	.end_amdgpu_metadata
